;; amdgpu-corpus repo=ROCm/rocFFT kind=compiled arch=gfx1030 opt=O3
	.text
	.amdgcn_target "amdgcn-amd-amdhsa--gfx1030"
	.amdhsa_code_object_version 6
	.protected	fft_rtc_back_len1521_factors_13_3_3_13_wgs_117_tpt_117_halfLds_sp_ip_CI_sbrr_dirReg ; -- Begin function fft_rtc_back_len1521_factors_13_3_3_13_wgs_117_tpt_117_halfLds_sp_ip_CI_sbrr_dirReg
	.globl	fft_rtc_back_len1521_factors_13_3_3_13_wgs_117_tpt_117_halfLds_sp_ip_CI_sbrr_dirReg
	.p2align	8
	.type	fft_rtc_back_len1521_factors_13_3_3_13_wgs_117_tpt_117_halfLds_sp_ip_CI_sbrr_dirReg,@function
fft_rtc_back_len1521_factors_13_3_3_13_wgs_117_tpt_117_halfLds_sp_ip_CI_sbrr_dirReg: ; @fft_rtc_back_len1521_factors_13_3_3_13_wgs_117_tpt_117_halfLds_sp_ip_CI_sbrr_dirReg
; %bb.0:
	s_clause 0x2
	s_load_dwordx2 s[14:15], s[4:5], 0x18
	s_load_dwordx4 s[8:11], s[4:5], 0x0
	s_load_dwordx2 s[12:13], s[4:5], 0x50
	v_mul_u32_u24_e32 v1, 0x231, v0
	v_mov_b32_e32 v3, 0
	v_add_nc_u32_sdwa v5, s6, v1 dst_sel:DWORD dst_unused:UNUSED_PAD src0_sel:DWORD src1_sel:WORD_1
	v_mov_b32_e32 v1, 0
	v_mov_b32_e32 v6, v3
	v_mov_b32_e32 v2, 0
	s_waitcnt lgkmcnt(0)
	s_load_dwordx2 s[2:3], s[14:15], 0x0
	v_cmp_lt_u64_e64 s0, s[10:11], 2
	s_and_b32 vcc_lo, exec_lo, s0
	s_cbranch_vccnz .LBB0_8
; %bb.1:
	s_load_dwordx2 s[0:1], s[4:5], 0x10
	v_mov_b32_e32 v1, 0
	s_add_u32 s6, s14, 8
	v_mov_b32_e32 v2, 0
	s_addc_u32 s7, s15, 0
	s_mov_b64 s[18:19], 1
	s_waitcnt lgkmcnt(0)
	s_add_u32 s16, s0, 8
	s_addc_u32 s17, s1, 0
.LBB0_2:                                ; =>This Inner Loop Header: Depth=1
	s_load_dwordx2 s[20:21], s[16:17], 0x0
                                        ; implicit-def: $vgpr7_vgpr8
	s_mov_b32 s0, exec_lo
	s_waitcnt lgkmcnt(0)
	v_or_b32_e32 v4, s21, v6
	v_cmpx_ne_u64_e32 0, v[3:4]
	s_xor_b32 s1, exec_lo, s0
	s_cbranch_execz .LBB0_4
; %bb.3:                                ;   in Loop: Header=BB0_2 Depth=1
	v_cvt_f32_u32_e32 v4, s20
	v_cvt_f32_u32_e32 v7, s21
	s_sub_u32 s0, 0, s20
	s_subb_u32 s22, 0, s21
	v_fmac_f32_e32 v4, 0x4f800000, v7
	v_rcp_f32_e32 v4, v4
	v_mul_f32_e32 v4, 0x5f7ffffc, v4
	v_mul_f32_e32 v7, 0x2f800000, v4
	v_trunc_f32_e32 v7, v7
	v_fmac_f32_e32 v4, 0xcf800000, v7
	v_cvt_u32_f32_e32 v7, v7
	v_cvt_u32_f32_e32 v4, v4
	v_mul_lo_u32 v8, s0, v7
	v_mul_hi_u32 v9, s0, v4
	v_mul_lo_u32 v10, s22, v4
	v_add_nc_u32_e32 v8, v9, v8
	v_mul_lo_u32 v9, s0, v4
	v_add_nc_u32_e32 v8, v8, v10
	v_mul_hi_u32 v10, v4, v9
	v_mul_lo_u32 v11, v4, v8
	v_mul_hi_u32 v12, v4, v8
	v_mul_hi_u32 v13, v7, v9
	v_mul_lo_u32 v9, v7, v9
	v_mul_hi_u32 v14, v7, v8
	v_mul_lo_u32 v8, v7, v8
	v_add_co_u32 v10, vcc_lo, v10, v11
	v_add_co_ci_u32_e32 v11, vcc_lo, 0, v12, vcc_lo
	v_add_co_u32 v9, vcc_lo, v10, v9
	v_add_co_ci_u32_e32 v9, vcc_lo, v11, v13, vcc_lo
	v_add_co_ci_u32_e32 v10, vcc_lo, 0, v14, vcc_lo
	v_add_co_u32 v8, vcc_lo, v9, v8
	v_add_co_ci_u32_e32 v9, vcc_lo, 0, v10, vcc_lo
	v_add_co_u32 v4, vcc_lo, v4, v8
	v_add_co_ci_u32_e32 v7, vcc_lo, v7, v9, vcc_lo
	v_mul_hi_u32 v8, s0, v4
	v_mul_lo_u32 v10, s22, v4
	v_mul_lo_u32 v9, s0, v7
	v_add_nc_u32_e32 v8, v8, v9
	v_mul_lo_u32 v9, s0, v4
	v_add_nc_u32_e32 v8, v8, v10
	v_mul_hi_u32 v10, v4, v9
	v_mul_lo_u32 v11, v4, v8
	v_mul_hi_u32 v12, v4, v8
	v_mul_hi_u32 v13, v7, v9
	v_mul_lo_u32 v9, v7, v9
	v_mul_hi_u32 v14, v7, v8
	v_mul_lo_u32 v8, v7, v8
	v_add_co_u32 v10, vcc_lo, v10, v11
	v_add_co_ci_u32_e32 v11, vcc_lo, 0, v12, vcc_lo
	v_add_co_u32 v9, vcc_lo, v10, v9
	v_add_co_ci_u32_e32 v9, vcc_lo, v11, v13, vcc_lo
	v_add_co_ci_u32_e32 v10, vcc_lo, 0, v14, vcc_lo
	v_add_co_u32 v8, vcc_lo, v9, v8
	v_add_co_ci_u32_e32 v9, vcc_lo, 0, v10, vcc_lo
	v_add_co_u32 v4, vcc_lo, v4, v8
	v_add_co_ci_u32_e32 v11, vcc_lo, v7, v9, vcc_lo
	v_mul_hi_u32 v13, v5, v4
	v_mad_u64_u32 v[9:10], null, v6, v4, 0
	v_mad_u64_u32 v[7:8], null, v5, v11, 0
	;; [unrolled: 1-line block ×3, first 2 shown]
	v_add_co_u32 v4, vcc_lo, v13, v7
	v_add_co_ci_u32_e32 v7, vcc_lo, 0, v8, vcc_lo
	v_add_co_u32 v4, vcc_lo, v4, v9
	v_add_co_ci_u32_e32 v4, vcc_lo, v7, v10, vcc_lo
	v_add_co_ci_u32_e32 v7, vcc_lo, 0, v12, vcc_lo
	v_add_co_u32 v4, vcc_lo, v4, v11
	v_add_co_ci_u32_e32 v9, vcc_lo, 0, v7, vcc_lo
	v_mul_lo_u32 v10, s21, v4
	v_mad_u64_u32 v[7:8], null, s20, v4, 0
	v_mul_lo_u32 v11, s20, v9
	v_sub_co_u32 v7, vcc_lo, v5, v7
	v_add3_u32 v8, v8, v11, v10
	v_sub_nc_u32_e32 v10, v6, v8
	v_subrev_co_ci_u32_e64 v10, s0, s21, v10, vcc_lo
	v_add_co_u32 v11, s0, v4, 2
	v_add_co_ci_u32_e64 v12, s0, 0, v9, s0
	v_sub_co_u32 v13, s0, v7, s20
	v_sub_co_ci_u32_e32 v8, vcc_lo, v6, v8, vcc_lo
	v_subrev_co_ci_u32_e64 v10, s0, 0, v10, s0
	v_cmp_le_u32_e32 vcc_lo, s20, v13
	v_cmp_eq_u32_e64 s0, s21, v8
	v_cndmask_b32_e64 v13, 0, -1, vcc_lo
	v_cmp_le_u32_e32 vcc_lo, s21, v10
	v_cndmask_b32_e64 v14, 0, -1, vcc_lo
	v_cmp_le_u32_e32 vcc_lo, s20, v7
	;; [unrolled: 2-line block ×3, first 2 shown]
	v_cndmask_b32_e64 v15, 0, -1, vcc_lo
	v_cmp_eq_u32_e32 vcc_lo, s21, v10
	v_cndmask_b32_e64 v7, v15, v7, s0
	v_cndmask_b32_e32 v10, v14, v13, vcc_lo
	v_add_co_u32 v13, vcc_lo, v4, 1
	v_add_co_ci_u32_e32 v14, vcc_lo, 0, v9, vcc_lo
	v_cmp_ne_u32_e32 vcc_lo, 0, v10
	v_cndmask_b32_e32 v8, v14, v12, vcc_lo
	v_cndmask_b32_e32 v10, v13, v11, vcc_lo
	v_cmp_ne_u32_e32 vcc_lo, 0, v7
	v_cndmask_b32_e32 v8, v9, v8, vcc_lo
	v_cndmask_b32_e32 v7, v4, v10, vcc_lo
.LBB0_4:                                ;   in Loop: Header=BB0_2 Depth=1
	s_andn2_saveexec_b32 s0, s1
	s_cbranch_execz .LBB0_6
; %bb.5:                                ;   in Loop: Header=BB0_2 Depth=1
	v_cvt_f32_u32_e32 v4, s20
	s_sub_i32 s1, 0, s20
	v_rcp_iflag_f32_e32 v4, v4
	v_mul_f32_e32 v4, 0x4f7ffffe, v4
	v_cvt_u32_f32_e32 v4, v4
	v_mul_lo_u32 v7, s1, v4
	v_mul_hi_u32 v7, v4, v7
	v_add_nc_u32_e32 v4, v4, v7
	v_mul_hi_u32 v4, v5, v4
	v_mul_lo_u32 v7, v4, s20
	v_add_nc_u32_e32 v8, 1, v4
	v_sub_nc_u32_e32 v7, v5, v7
	v_subrev_nc_u32_e32 v9, s20, v7
	v_cmp_le_u32_e32 vcc_lo, s20, v7
	v_cndmask_b32_e32 v7, v7, v9, vcc_lo
	v_cndmask_b32_e32 v4, v4, v8, vcc_lo
	v_cmp_le_u32_e32 vcc_lo, s20, v7
	v_add_nc_u32_e32 v8, 1, v4
	v_cndmask_b32_e32 v7, v4, v8, vcc_lo
	v_mov_b32_e32 v8, v3
.LBB0_6:                                ;   in Loop: Header=BB0_2 Depth=1
	s_or_b32 exec_lo, exec_lo, s0
	s_load_dwordx2 s[0:1], s[6:7], 0x0
	v_mul_lo_u32 v4, v8, s20
	v_mul_lo_u32 v11, v7, s21
	v_mad_u64_u32 v[9:10], null, v7, s20, 0
	s_add_u32 s18, s18, 1
	s_addc_u32 s19, s19, 0
	s_add_u32 s6, s6, 8
	s_addc_u32 s7, s7, 0
	;; [unrolled: 2-line block ×3, first 2 shown]
	v_add3_u32 v4, v10, v11, v4
	v_sub_co_u32 v5, vcc_lo, v5, v9
	v_sub_co_ci_u32_e32 v4, vcc_lo, v6, v4, vcc_lo
	s_waitcnt lgkmcnt(0)
	v_mul_lo_u32 v6, s1, v5
	v_mul_lo_u32 v4, s0, v4
	v_mad_u64_u32 v[1:2], null, s0, v5, v[1:2]
	v_cmp_ge_u64_e64 s0, s[18:19], s[10:11]
	s_and_b32 vcc_lo, exec_lo, s0
	v_add3_u32 v2, v6, v2, v4
	s_cbranch_vccnz .LBB0_9
; %bb.7:                                ;   in Loop: Header=BB0_2 Depth=1
	v_mov_b32_e32 v5, v7
	v_mov_b32_e32 v6, v8
	s_branch .LBB0_2
.LBB0_8:
	v_mov_b32_e32 v8, v6
	v_mov_b32_e32 v7, v5
.LBB0_9:
	s_lshl_b64 s[0:1], s[10:11], 3
	v_mul_hi_u32 v3, 0x2302303, v0
	s_add_u32 s0, s14, s0
	s_addc_u32 s1, s15, s1
	s_load_dwordx2 s[4:5], s[4:5], 0x20
	s_load_dwordx2 s[0:1], s[0:1], 0x0
                                        ; implicit-def: $sgpr6
	v_mul_u32_u24_e32 v3, 0x75, v3
	v_sub_nc_u32_e32 v37, v0, v3
	v_add_nc_u32_e32 v38, 0x75, v37
	v_add_nc_u32_e32 v41, 0xea, v37
	;; [unrolled: 1-line block ×4, first 2 shown]
	s_waitcnt lgkmcnt(0)
	v_cmp_gt_u64_e32 vcc_lo, s[4:5], v[7:8]
	v_mul_lo_u32 v3, s0, v8
	v_mul_lo_u32 v4, s1, v7
	v_mad_u64_u32 v[0:1], null, s0, v7, v[1:2]
	v_cmp_le_u64_e64 s0, s[4:5], v[7:8]
                                        ; implicit-def: $sgpr4_sgpr5
	v_add3_u32 v1, v4, v1, v3
	s_and_saveexec_b32 s1, s0
	s_xor_b32 s0, exec_lo, s1
; %bb.10:
	v_add_nc_u32_e32 v38, 0x75, v37
	v_add_nc_u32_e32 v41, 0xea, v37
	;; [unrolled: 1-line block ×4, first 2 shown]
	s_mov_b32 s6, 0
	s_mov_b64 s[4:5], 0
; %bb.11:
	s_or_saveexec_b32 s1, s0
	v_lshlrev_b64 v[0:1], 3, v[0:1]
	v_mov_b32_e32 v9, s5
	v_mov_b32_e32 v36, s6
	;; [unrolled: 1-line block ×3, first 2 shown]
                                        ; implicit-def: $vgpr29
                                        ; implicit-def: $vgpr27
                                        ; implicit-def: $vgpr11
                                        ; implicit-def: $vgpr15
                                        ; implicit-def: $vgpr7
                                        ; implicit-def: $vgpr3
                                        ; implicit-def: $vgpr33
                                        ; implicit-def: $vgpr35
                                        ; implicit-def: $vgpr31
                                        ; implicit-def: $vgpr21
                                        ; implicit-def: $vgpr13
                                        ; implicit-def: $vgpr5
	s_xor_b32 exec_lo, exec_lo, s1
	s_cbranch_execz .LBB0_13
; %bb.12:
	v_mad_u64_u32 v[2:3], null, s2, v37, 0
	v_mad_u64_u32 v[4:5], null, s2, v38, 0
	v_mad_u64_u32 v[6:7], null, s2, v41, 0
	v_mad_u64_u32 v[8:9], null, s2, v40, 0
	v_add_co_u32 v35, s0, s12, v0
	v_mad_u64_u32 v[10:11], null, s3, v37, v[3:4]
	v_mad_u64_u32 v[11:12], null, s3, v38, v[5:6]
	;; [unrolled: 1-line block ×4, first 2 shown]
	v_mov_b32_e32 v3, v10
	v_mad_u64_u32 v[9:10], null, s3, v40, v[9:10]
	v_mov_b32_e32 v5, v11
	v_mov_b32_e32 v7, v12
	v_lshlrev_b64 v[2:3], 3, v[2:3]
	v_add_nc_u32_e32 v19, 0x249, v37
	v_add_co_ci_u32_e64 v36, s0, s13, v1, s0
	v_lshlrev_b64 v[4:5], 3, v[4:5]
	v_lshlrev_b64 v[6:7], 3, v[6:7]
	v_add_co_u32 v2, s0, v35, v2
	v_mad_u64_u32 v[15:16], null, s2, v19, 0
	v_add_co_ci_u32_e64 v3, s0, v36, v3, s0
	v_add_co_u32 v4, s0, v35, v4
	v_mov_b32_e32 v10, v14
	v_lshlrev_b64 v[8:9], 3, v[8:9]
	v_add_co_ci_u32_e64 v5, s0, v36, v5, s0
	v_add_co_u32 v6, s0, v35, v6
	v_mad_u64_u32 v[10:11], null, s3, v39, v[10:11]
	v_add_co_ci_u32_e64 v7, s0, v36, v7, s0
	v_add_co_u32 v11, s0, v35, v8
	v_mov_b32_e32 v8, v16
	v_add_nc_u32_e32 v21, 0x2be, v37
	v_add_co_ci_u32_e64 v12, s0, v36, v9, s0
	v_mov_b32_e32 v14, v10
	v_mad_u64_u32 v[19:20], null, s3, v19, v[8:9]
	v_mad_u64_u32 v[17:18], null, s2, v21, 0
	v_add_nc_u32_e32 v20, 0x333, v37
	s_clause 0x3
	global_load_dwordx2 v[8:9], v[2:3], off
	global_load_dwordx2 v[28:29], v[4:5], off
	;; [unrolled: 1-line block ×4, first 2 shown]
	v_lshlrev_b64 v[2:3], 3, v[13:14]
	v_add_nc_u32_e32 v25, 0x492, v37
	v_mov_b32_e32 v16, v19
	v_mad_u64_u32 v[5:6], null, s2, v20, 0
	v_mov_b32_e32 v4, v18
	v_add_co_u32 v2, s0, v35, v2
	v_add_co_ci_u32_e64 v3, s0, v36, v3, s0
	v_mad_u64_u32 v[23:24], null, s2, v25, 0
	v_mad_u64_u32 v[12:13], null, s3, v21, v[4:5]
	v_mov_b32_e32 v4, v6
	v_lshlrev_b64 v[6:7], 3, v[15:16]
	v_add_nc_u32_e32 v15, 0x3a8, v37
	v_add_nc_u32_e32 v42, 0x507, v37
	;; [unrolled: 1-line block ×3, first 2 shown]
	v_mov_b32_e32 v18, v12
	v_mad_u64_u32 v[12:13], null, s3, v20, v[4:5]
	v_add_co_u32 v21, s0, v35, v6
	v_mad_u64_u32 v[19:20], null, s2, v15, 0
	v_add_co_ci_u32_e64 v22, s0, v36, v7, s0
	v_add_nc_u32_e32 v7, 0x41d, v37
	v_mov_b32_e32 v6, v12
	v_lshlrev_b64 v[13:14], 3, v[17:18]
	v_mad_u64_u32 v[33:34], null, s2, v43, 0
	v_mad_u64_u32 v[16:17], null, s2, v7, 0
	v_lshlrev_b64 v[5:6], 3, v[5:6]
	v_mov_b32_e32 v4, v20
	v_add_co_u32 v12, s0, v35, v13
	v_add_co_ci_u32_e64 v13, s0, v36, v14, s0
	v_mad_u64_u32 v[14:15], null, s3, v15, v[4:5]
	v_mov_b32_e32 v4, v17
	v_add_co_u32 v17, s0, v35, v5
	v_add_co_ci_u32_e64 v18, s0, v36, v6, s0
	v_mad_u64_u32 v[30:31], null, s3, v7, v[4:5]
	v_mov_b32_e32 v4, v24
	v_mov_b32_e32 v20, v14
	v_mad_u64_u32 v[31:32], null, s2, v42, 0
	v_mad_u64_u32 v[24:25], null, s3, v25, v[4:5]
	s_clause 0x3
	global_load_dwordx2 v[14:15], v[2:3], off
	global_load_dwordx2 v[6:7], v[21:22], off
	;; [unrolled: 1-line block ×4, first 2 shown]
	v_mov_b32_e32 v17, v30
	v_lshlrev_b64 v[18:19], 3, v[19:20]
	v_mov_b32_e32 v12, v32
	v_lshlrev_b64 v[16:17], 3, v[16:17]
	v_mad_u64_u32 v[12:13], null, s3, v42, v[12:13]
	v_mov_b32_e32 v13, v34
	v_add_co_u32 v18, s0, v35, v18
	v_add_co_ci_u32_e64 v19, s0, v36, v19, s0
	v_add_co_u32 v16, s0, v35, v16
	v_mov_b32_e32 v32, v12
	v_add_co_ci_u32_e64 v17, s0, v36, v17, s0
	s_waitcnt vmcnt(3)
	v_mad_u64_u32 v[20:21], null, s3, v43, v[13:14]
	v_lshlrev_b64 v[21:22], 3, v[23:24]
	v_lshlrev_b64 v[12:13], 3, v[31:32]
	v_mov_b32_e32 v34, v20
	v_add_co_u32 v23, s0, v35, v21
	v_add_co_ci_u32_e64 v24, s0, v36, v22, s0
	v_lshlrev_b64 v[20:21], 3, v[33:34]
	v_add_co_u32 v32, s0, v35, v12
	v_add_co_ci_u32_e64 v33, s0, v36, v13, s0
	v_add_co_u32 v42, s0, v35, v20
	v_add_co_ci_u32_e64 v43, s0, v36, v21, s0
	s_clause 0x4
	global_load_dwordx2 v[12:13], v[18:19], off
	global_load_dwordx2 v[20:21], v[16:17], off
	;; [unrolled: 1-line block ×5, first 2 shown]
	v_mov_b32_e32 v36, v37
.LBB0_13:
	s_or_b32 exec_lo, exec_lo, s1
	s_waitcnt vmcnt(0)
	v_sub_f32_e32 v17, v29, v33
	v_add_f32_e32 v18, v28, v32
	v_sub_f32_e32 v22, v27, v35
	v_add_f32_e32 v19, v26, v34
	v_add_f32_e32 v16, v28, v8
	v_mul_f32_e32 v23, 0xbeedf032, v17
	v_mul_f32_e32 v24, 0xbf52af12, v17
	;; [unrolled: 1-line block ×8, first 2 shown]
	v_fmamk_f32 v48, v18, 0x3f62ad3f, v23
	v_fma_f32 v23, 0x3f62ad3f, v18, -v23
	v_fmamk_f32 v49, v18, 0x3f116cb1, v24
	v_fma_f32 v24, 0x3f116cb1, v18, -v24
	v_mul_f32_e32 v46, 0xbe750f2a, v22
	v_mul_f32_e32 v47, 0x3f29c268, v22
	v_fmamk_f32 v50, v18, 0x3df6dbef, v25
	v_fma_f32 v25, 0x3df6dbef, v18, -v25
	v_fmamk_f32 v51, v18, 0xbeb58ec6, v42
	v_fma_f32 v42, 0xbeb58ec6, v18, -v42
	;; [unrolled: 2-line block ×6, first 2 shown]
	v_add_f32_e32 v48, v48, v8
	v_add_f32_e32 v23, v23, v8
	;; [unrolled: 1-line block ×14, first 2 shown]
	v_fmamk_f32 v44, v19, 0xbf788fa5, v46
	v_add_f32_e32 v24, v45, v24
	v_fma_f32 v45, 0xbf788fa5, v19, -v46
	v_fmamk_f32 v46, v19, 0xbf3f9e67, v47
	v_fma_f32 v47, 0xbf3f9e67, v19, -v47
	v_mul_f32_e32 v48, 0x3f7e222b, v22
	v_mul_f32_e32 v22, 0x3eedf032, v22
	v_add_f32_e32 v25, v45, v25
	v_add_f32_e32 v45, v46, v51
	v_sub_f32_e32 v46, v11, v31
	v_add_f32_e32 v23, v54, v49
	v_add_f32_e32 v44, v44, v50
	;; [unrolled: 1-line block ×3, first 2 shown]
	v_fmamk_f32 v47, v19, 0x3df6dbef, v48
	v_fma_f32 v48, 0x3df6dbef, v19, -v48
	v_add_f32_e32 v49, v10, v30
	v_mul_f32_e32 v50, 0xbf7e222b, v46
	v_fmamk_f32 v51, v19, 0x3f62ad3f, v22
	v_fma_f32 v19, 0x3f62ad3f, v19, -v22
	v_add_f32_e32 v22, v48, v43
	v_mul_f32_e32 v48, 0xbe750f2a, v46
	v_fmamk_f32 v43, v49, 0x3df6dbef, v50
	v_add_f32_e32 v47, v47, v52
	v_add_f32_e32 v8, v19, v8
	v_fma_f32 v19, 0x3df6dbef, v49, -v50
	v_mul_f32_e32 v50, 0x3f6f5d39, v46
	v_add_f32_e32 v17, v43, v17
	v_fmamk_f32 v43, v49, 0xbf788fa5, v48
	v_fma_f32 v48, 0xbf788fa5, v49, -v48
	v_add_f32_e32 v18, v19, v18
	v_mul_f32_e32 v19, 0x3eedf032, v46
	v_add_f32_e32 v51, v51, v53
	v_add_f32_e32 v23, v43, v23
	v_fmamk_f32 v43, v49, 0xbeb58ec6, v50
	v_add_f32_e32 v24, v48, v24
	v_fma_f32 v48, 0xbeb58ec6, v49, -v50
	v_fmamk_f32 v50, v49, 0x3f62ad3f, v19
	v_fma_f32 v19, 0x3f62ad3f, v49, -v19
	v_add_f32_e32 v43, v43, v44
	v_mul_f32_e32 v44, 0xbf52af12, v46
	v_add_f32_e32 v25, v48, v25
	v_add_f32_e32 v45, v50, v45
	;; [unrolled: 1-line block ×3, first 2 shown]
	v_sub_f32_e32 v42, v15, v21
	v_fmamk_f32 v48, v49, 0x3f116cb1, v44
	v_mul_f32_e32 v46, 0xbf29c268, v46
	v_fma_f32 v44, 0x3f116cb1, v49, -v44
	v_add_f32_e32 v50, v14, v20
	v_mul_f32_e32 v52, 0xbf6f5d39, v42
	v_add_f32_e32 v47, v48, v47
	v_fmamk_f32 v48, v49, 0xbf3f9e67, v46
	v_add_f32_e32 v22, v44, v22
	v_fma_f32 v44, 0xbf3f9e67, v49, -v46
	v_fmamk_f32 v46, v50, 0xbeb58ec6, v52
	v_mul_f32_e32 v49, 0x3f29c268, v42
	v_add_f32_e32 v48, v48, v51
	v_fma_f32 v51, 0xbeb58ec6, v50, -v52
	v_add_f32_e32 v8, v44, v8
	v_add_f32_e32 v17, v46, v17
	v_fmamk_f32 v44, v50, 0xbf3f9e67, v49
	v_mul_f32_e32 v46, 0x3eedf032, v42
	v_add_f32_e32 v18, v51, v18
	v_fma_f32 v49, 0xbf3f9e67, v50, -v49
	v_mul_f32_e32 v51, 0xbf7e222b, v42
	v_add_f32_e32 v23, v44, v23
	v_fmamk_f32 v44, v50, 0x3f62ad3f, v46
	v_fma_f32 v46, 0x3f62ad3f, v50, -v46
	v_add_f32_e32 v24, v49, v24
	v_fmamk_f32 v49, v50, 0x3df6dbef, v51
	v_fma_f32 v51, 0x3df6dbef, v50, -v51
	v_add_f32_e32 v43, v44, v43
	v_add_f32_e32 v25, v46, v25
	v_mul_f32_e32 v44, 0x3e750f2a, v42
	v_sub_f32_e32 v46, v7, v13
	v_add_f32_e32 v16, v26, v16
	v_add_f32_e32 v45, v49, v45
	v_add_f32_e32 v19, v51, v19
	v_mul_f32_e32 v42, 0x3f52af12, v42
	v_fmamk_f32 v49, v50, 0xbf788fa5, v44
	v_fma_f32 v44, 0xbf788fa5, v50, -v44
	v_add_f32_e32 v51, v6, v12
	v_mul_f32_e32 v52, 0xbf29c268, v46
	v_add_f32_e32 v16, v10, v16
	v_fmamk_f32 v53, v50, 0x3f116cb1, v42
	v_add_f32_e32 v47, v49, v47
	v_add_f32_e32 v22, v44, v22
	v_fma_f32 v42, 0x3f116cb1, v50, -v42
	v_fmamk_f32 v44, v51, 0xbf3f9e67, v52
	v_mul_f32_e32 v49, 0x3f7e222b, v46
	v_fma_f32 v50, 0xbf3f9e67, v51, -v52
	v_add_f32_e32 v16, v14, v16
	v_add_f32_e32 v8, v42, v8
	;; [unrolled: 1-line block ×3, first 2 shown]
	v_mul_f32_e32 v42, 0xbf52af12, v46
	v_fmamk_f32 v44, v51, 0x3df6dbef, v49
	v_add_f32_e32 v18, v50, v18
	v_mul_f32_e32 v50, 0x3e750f2a, v46
	v_add_f32_e32 v16, v6, v16
	v_fma_f32 v49, 0x3df6dbef, v51, -v49
	v_fmamk_f32 v52, v51, 0x3f116cb1, v42
	v_add_f32_e32 v23, v44, v23
	v_fma_f32 v42, 0x3f116cb1, v51, -v42
	v_fmamk_f32 v44, v51, 0xbf788fa5, v50
	v_add_f32_e32 v16, v2, v16
	v_add_f32_e32 v24, v49, v24
	v_fma_f32 v49, 0xbf788fa5, v51, -v50
	v_add_f32_e32 v25, v42, v25
	v_mul_f32_e32 v42, 0x3eedf032, v46
	v_add_f32_e32 v44, v44, v45
	v_mul_f32_e32 v45, 0xbf6f5d39, v46
	v_sub_f32_e32 v46, v3, v5
	v_add_f32_e32 v16, v4, v16
	v_add_f32_e32 v48, v53, v48
	;; [unrolled: 1-line block ×4, first 2 shown]
	v_fmamk_f32 v49, v51, 0x3f62ad3f, v42
	v_fma_f32 v42, 0x3f62ad3f, v51, -v42
	v_fmamk_f32 v50, v51, 0xbeb58ec6, v45
	v_add_f32_e32 v52, v2, v4
	v_mul_f32_e32 v53, 0xbe750f2a, v46
	v_fma_f32 v45, 0xbeb58ec6, v51, -v45
	v_add_f32_e32 v16, v12, v16
	v_add_f32_e32 v49, v49, v47
	;; [unrolled: 1-line block ×4, first 2 shown]
	v_fmamk_f32 v47, v52, 0xbf788fa5, v53
	v_mul_f32_e32 v48, 0x3eedf032, v46
	v_add_f32_e32 v45, v45, v8
	v_fma_f32 v8, 0xbf788fa5, v52, -v53
	v_mul_f32_e32 v50, 0xbf29c268, v46
	v_add_f32_e32 v16, v20, v16
	v_add_f32_e32 v17, v47, v17
	v_fmamk_f32 v51, v52, 0x3f62ad3f, v48
	v_fma_f32 v48, 0x3f62ad3f, v52, -v48
	v_add_f32_e32 v47, v8, v18
	v_fmamk_f32 v8, v52, 0xbf3f9e67, v50
	v_mul_f32_e32 v18, 0x3f52af12, v46
	v_add_f32_e32 v16, v30, v16
	v_add_f32_e32 v24, v48, v24
	v_fma_f32 v48, 0xbf3f9e67, v52, -v50
	v_add_f32_e32 v43, v8, v43
	v_fmamk_f32 v8, v52, 0x3f116cb1, v18
	v_fma_f32 v18, 0x3f116cb1, v52, -v18
	v_mul_f32_e32 v50, 0xbf6f5d39, v46
	v_add_f32_e32 v16, v34, v16
	v_mul_f32_e32 v46, 0x3f7e222b, v46
	v_add_f32_e32 v44, v8, v44
	v_add_f32_e32 v18, v18, v19
	v_fmamk_f32 v19, v52, 0xbeb58ec6, v50
	v_add_f32_e32 v16, v32, v16
	v_mad_u32_u24 v8, v37, 52, 0
	v_add_f32_e32 v23, v51, v23
	v_add_f32_e32 v25, v48, v25
	v_fma_f32 v48, 0xbeb58ec6, v52, -v50
	v_fmamk_f32 v50, v52, 0x3df6dbef, v46
	v_fma_f32 v46, 0x3df6dbef, v52, -v46
	v_add_f32_e32 v19, v19, v49
	ds_write2_b32 v8, v16, v17 offset1:1
	ds_write2_b32 v8, v23, v43 offset0:2 offset1:3
	ds_write2_b32 v8, v44, v19 offset0:4 offset1:5
	v_mad_i32_i24 v43, 0xffffffd0, v37, v8
	v_add_f32_e32 v42, v50, v42
	v_add_f32_e32 v45, v46, v45
	;; [unrolled: 1-line block ×3, first 2 shown]
	v_lshl_add_u32 v46, v38, 2, 0
	v_add_nc_u32_e32 v16, 0x600, v43
	v_add_nc_u32_e32 v17, 0xe00, v43
	v_lshl_add_u32 v44, v41, 2, 0
	ds_write2_b32 v8, v42, v45 offset0:6 offset1:7
	ds_write2_b32 v8, v22, v18 offset0:8 offset1:9
	ds_write2_b32 v8, v25, v24 offset0:10 offset1:11
	ds_write_b32 v8, v47 offset:48
	v_add_nc_u32_e32 v22, 0xa00, v43
	v_add_nc_u32_e32 v23, 0x1200, v43
	s_waitcnt lgkmcnt(0)
	s_barrier
	buffer_gl0_inv
	ds_read2_b32 v[18:19], v16 offset0:123 offset1:240
	ds_read2_b32 v[16:17], v17 offset0:118 offset1:235
	v_lshl_add_u32 v45, v40, 2, 0
	ds_read_b32 v49, v46
	ds_read_b32 v48, v44
	ds_read2_b32 v[24:25], v22 offset0:101 offset1:218
	ds_read2_b32 v[22:23], v23 offset0:96 offset1:213
	ds_read_b32 v51, v43
	ds_read_b32 v50, v45
	v_mul_i32_i24_e32 v42, 0xffffffd0, v37
	v_cmp_gt_u32_e64 s0, 39, v37
	v_lshl_add_u32 v43, v39, 2, 0
                                        ; implicit-def: $vgpr52
                                        ; implicit-def: $vgpr53
	v_add_nc_u32_e32 v42, v8, v42
	s_and_saveexec_b32 s1, s0
	s_cbranch_execz .LBB0_15
; %bb.14:
	ds_read_b32 v53, v42 offset:3900
	ds_read_b32 v47, v43
	ds_read_b32 v52, v42 offset:5928
.LBB0_15:
	s_or_b32 exec_lo, exec_lo, s1
	v_add_f32_e32 v54, v29, v9
	v_sub_f32_e32 v28, v28, v32
	v_add_f32_e32 v32, v27, v35
	v_add_f32_e32 v29, v29, v33
	v_sub_f32_e32 v26, v26, v34
	v_add_f32_e32 v27, v27, v54
	v_mul_f32_e32 v54, 0xbf52af12, v28
	v_mul_f32_e32 v34, 0xbeedf032, v28
	;; [unrolled: 1-line block ×4, first 2 shown]
	v_add_f32_e32 v27, v11, v27
	v_fma_f32 v63, 0x3f116cb1, v29, -v54
	v_fmac_f32_e32 v54, 0x3f116cb1, v29
	v_mul_f32_e32 v56, 0xbf6f5d39, v28
	v_mul_f32_e32 v57, 0xbf29c268, v28
	v_add_f32_e32 v27, v15, v27
	v_mul_f32_e32 v28, 0xbe750f2a, v28
	v_mul_f32_e32 v58, 0xbf52af12, v26
	v_fma_f32 v62, 0x3f62ad3f, v29, -v34
	v_fmac_f32_e32 v34, 0x3f62ad3f, v29
	v_add_f32_e32 v27, v7, v27
	v_fma_f32 v68, 0xbeb58ec6, v32, -v59
	v_fmac_f32_e32 v59, 0xbeb58ec6, v32
	v_add_f32_e32 v54, v54, v9
	v_mul_f32_e32 v60, 0xbe750f2a, v26
	v_add_f32_e32 v27, v3, v27
	v_fma_f32 v64, 0x3df6dbef, v29, -v55
	v_fmac_f32_e32 v55, 0x3df6dbef, v29
	v_fma_f32 v65, 0xbeb58ec6, v29, -v56
	v_fmac_f32_e32 v56, 0xbeb58ec6, v29
	v_add_f32_e32 v27, v5, v27
	v_fma_f32 v66, 0xbf3f9e67, v29, -v57
	v_fmac_f32_e32 v57, 0xbf3f9e67, v29
	v_fma_f32 v67, 0xbf788fa5, v29, -v28
	v_fmac_f32_e32 v28, 0xbf788fa5, v29
	v_add_f32_e32 v27, v13, v27
	v_fma_f32 v29, 0x3f116cb1, v32, -v58
	v_fmac_f32_e32 v58, 0x3f116cb1, v32
	v_add_f32_e32 v62, v62, v9
	v_add_f32_e32 v34, v34, v9
	;; [unrolled: 1-line block ×4, first 2 shown]
	v_mul_f32_e32 v59, 0x3f7e222b, v26
	v_sub_f32_e32 v10, v10, v30
	v_mul_f32_e32 v61, 0x3f29c268, v26
	v_add_f32_e32 v27, v31, v27
	v_add_f32_e32 v63, v63, v9
	;; [unrolled: 1-line block ×13, first 2 shown]
	v_fma_f32 v34, 0xbf788fa5, v32, -v60
	v_fmac_f32_e32 v60, 0xbf788fa5, v32
	v_fma_f32 v30, 0x3df6dbef, v32, -v59
	v_mul_f32_e32 v26, 0x3eedf032, v26
	v_fmac_f32_e32 v59, 0x3df6dbef, v32
	v_add_f32_e32 v11, v11, v31
	v_mul_f32_e32 v31, 0xbf7e222b, v10
	v_fma_f32 v58, 0xbf3f9e67, v32, -v61
	v_fmac_f32_e32 v61, 0xbf3f9e67, v32
	v_add_f32_e32 v55, v60, v55
	v_fma_f32 v60, 0x3f62ad3f, v32, -v26
	v_fmac_f32_e32 v26, 0x3f62ad3f, v32
	v_add_f32_e32 v32, v59, v57
	v_fma_f32 v57, 0x3df6dbef, v11, -v31
	v_mul_f32_e32 v59, 0xbe750f2a, v10
	v_add_f32_e32 v27, v33, v27
	v_add_f32_e32 v33, v68, v63
	;; [unrolled: 1-line block ×4, first 2 shown]
	v_fma_f32 v28, 0xbf788fa5, v11, -v59
	v_mul_f32_e32 v57, 0x3f6f5d39, v10
	v_add_f32_e32 v34, v34, v64
	v_fmac_f32_e32 v31, 0x3df6dbef, v11
	v_sub_f32_e32 v14, v14, v20
	v_add_f32_e32 v28, v28, v33
	v_fma_f32 v33, 0xbeb58ec6, v11, -v57
	v_add_f32_e32 v30, v30, v66
	v_fmac_f32_e32 v59, 0xbf788fa5, v11
	v_add_f32_e32 v29, v31, v29
	v_mul_f32_e32 v31, 0x3eedf032, v10
	v_add_f32_e32 v33, v33, v34
	v_mul_f32_e32 v34, 0xbf52af12, v10
	v_mul_f32_e32 v10, 0xbf29c268, v10
	v_add_f32_e32 v15, v15, v21
	v_mul_f32_e32 v21, 0xbf6f5d39, v14
	v_add_f32_e32 v54, v59, v54
	v_fma_f32 v20, 0x3f116cb1, v11, -v34
	v_fmac_f32_e32 v34, 0x3f116cb1, v11
	v_fmac_f32_e32 v57, 0xbeb58ec6, v11
	v_fma_f32 v59, 0x3f62ad3f, v11, -v31
	v_fmac_f32_e32 v31, 0x3f62ad3f, v11
	v_add_f32_e32 v20, v20, v30
	v_fma_f32 v30, 0xbf3f9e67, v11, -v10
	v_fmac_f32_e32 v10, 0xbf3f9e67, v11
	v_add_f32_e32 v11, v34, v32
	v_fma_f32 v32, 0xbeb58ec6, v15, -v21
	v_mul_f32_e32 v34, 0x3f29c268, v14
	v_fmac_f32_e32 v21, 0xbeb58ec6, v15
	v_add_f32_e32 v9, v10, v9
	v_add_f32_e32 v56, v61, v56
	;; [unrolled: 1-line block ×3, first 2 shown]
	v_fma_f32 v26, 0xbf3f9e67, v15, -v34
	v_mul_f32_e32 v32, 0x3eedf032, v14
	v_add_f32_e32 v35, v60, v35
	v_add_f32_e32 v21, v21, v29
	v_mul_f32_e32 v29, 0xbf7e222b, v14
	v_add_f32_e32 v26, v26, v28
	v_fma_f32 v28, 0x3f62ad3f, v15, -v32
	v_sub_f32_e32 v6, v6, v12
	v_add_f32_e32 v31, v31, v56
	v_add_f32_e32 v30, v30, v35
	v_fma_f32 v35, 0x3df6dbef, v15, -v29
	v_add_f32_e32 v28, v28, v33
	v_mul_f32_e32 v33, 0x3e750f2a, v14
	v_fmac_f32_e32 v29, 0x3df6dbef, v15
	v_mul_f32_e32 v14, 0x3f52af12, v14
	v_add_f32_e32 v7, v7, v13
	v_mul_f32_e32 v13, 0xbf29c268, v6
	v_fma_f32 v12, 0xbf788fa5, v15, -v33
	v_fmac_f32_e32 v34, 0xbf3f9e67, v15
	v_fmac_f32_e32 v32, 0x3f62ad3f, v15
	v_add_f32_e32 v29, v29, v31
	v_fmac_f32_e32 v33, 0xbf788fa5, v15
	v_add_f32_e32 v12, v12, v20
	v_fma_f32 v20, 0x3f116cb1, v15, -v14
	v_fmac_f32_e32 v14, 0x3f116cb1, v15
	v_fma_f32 v15, 0xbf3f9e67, v7, -v13
	v_mul_f32_e32 v31, 0x3f7e222b, v6
	v_fmac_f32_e32 v13, 0xbf3f9e67, v7
	v_add_f32_e32 v34, v34, v54
	v_add_f32_e32 v9, v14, v9
	;; [unrolled: 1-line block ×3, first 2 shown]
	v_fma_f32 v14, 0x3df6dbef, v7, -v31
	v_mul_f32_e32 v15, 0xbf52af12, v6
	v_add_f32_e32 v13, v13, v21
	v_fmac_f32_e32 v31, 0x3df6dbef, v7
	v_mul_f32_e32 v21, 0x3e750f2a, v6
	v_add_f32_e32 v14, v14, v26
	v_fma_f32 v26, 0x3f116cb1, v7, -v15
	v_add_f32_e32 v20, v20, v30
	v_add_f32_e32 v30, v31, v34
	v_fma_f32 v31, 0xbf788fa5, v7, -v21
	v_fmac_f32_e32 v21, 0xbf788fa5, v7
	v_add_f32_e32 v26, v26, v28
	v_mul_f32_e32 v28, 0x3eedf032, v6
	v_sub_f32_e32 v2, v2, v4
	v_mul_f32_e32 v4, 0xbf6f5d39, v6
	v_add_f32_e32 v58, v58, v65
	v_add_f32_e32 v11, v33, v11
	;; [unrolled: 1-line block ×3, first 2 shown]
	v_fma_f32 v6, 0x3f62ad3f, v7, -v28
	v_fmac_f32_e32 v28, 0x3f62ad3f, v7
	v_add_f32_e32 v3, v3, v5
	v_mul_f32_e32 v5, 0xbe750f2a, v2
	v_fma_f32 v29, 0xbeb58ec6, v7, -v4
	v_fmac_f32_e32 v4, 0xbeb58ec6, v7
	v_add_f32_e32 v55, v57, v55
	v_add_f32_e32 v57, v59, v58
	v_fmac_f32_e32 v15, 0x3f116cb1, v7
	v_add_f32_e32 v11, v28, v11
	v_fma_f32 v7, 0xbf788fa5, v3, -v5
	v_mul_f32_e32 v28, 0x3eedf032, v2
	v_fmac_f32_e32 v5, 0xbf788fa5, v3
	v_add_f32_e32 v4, v4, v9
	v_mul_f32_e32 v9, 0xbf29c268, v2
	v_add_f32_e32 v32, v32, v55
	v_add_f32_e32 v35, v35, v57
	;; [unrolled: 1-line block ×5, first 2 shown]
	v_fma_f32 v10, 0x3f62ad3f, v3, -v28
	v_add_f32_e32 v20, v5, v13
	v_fmac_f32_e32 v28, 0x3f62ad3f, v3
	v_mul_f32_e32 v5, 0x3f52af12, v2
	v_fma_f32 v13, 0xbf3f9e67, v3, -v9
	v_add_f32_e32 v15, v15, v32
	v_add_f32_e32 v31, v31, v35
	;; [unrolled: 1-line block ×3, first 2 shown]
	v_fmac_f32_e32 v9, 0xbf3f9e67, v3
	v_add_f32_e32 v14, v28, v30
	v_fma_f32 v28, 0x3f116cb1, v3, -v5
	v_add_f32_e32 v13, v13, v26
	v_mul_f32_e32 v26, 0xbf6f5d39, v2
	v_mul_f32_e32 v2, 0x3f7e222b, v2
	v_add_f32_e32 v9, v9, v15
	v_add_f32_e32 v15, v28, v31
	v_fmac_f32_e32 v5, 0x3f116cb1, v3
	v_fma_f32 v28, 0xbeb58ec6, v3, -v26
	v_fmac_f32_e32 v26, 0xbeb58ec6, v3
	v_fma_f32 v29, 0x3df6dbef, v3, -v2
	v_fmac_f32_e32 v2, 0x3df6dbef, v3
	v_add_f32_e32 v3, v5, v21
	v_add_f32_e32 v5, v28, v6
	;; [unrolled: 1-line block ×5, first 2 shown]
	s_waitcnt lgkmcnt(0)
	s_barrier
	buffer_gl0_inv
	ds_write2_b32 v8, v27, v7 offset1:1
	ds_write2_b32 v8, v10, v13 offset0:2 offset1:3
	ds_write2_b32 v8, v15, v5 offset0:4 offset1:5
	ds_write2_b32 v8, v11, v2 offset0:6 offset1:7
	ds_write2_b32 v8, v6, v3 offset0:8 offset1:9
	ds_write2_b32 v8, v9, v14 offset0:10 offset1:11
	ds_write_b32 v8, v20 offset:48
	v_add_nc_u32_e32 v2, 0x600, v42
	v_add_nc_u32_e32 v4, 0xe00, v42
	;; [unrolled: 1-line block ×4, first 2 shown]
	s_waitcnt lgkmcnt(0)
	s_barrier
	buffer_gl0_inv
	ds_read2_b32 v[2:3], v2 offset0:123 offset1:240
	ds_read2_b32 v[8:9], v4 offset0:118 offset1:235
	ds_read_b32 v11, v46
	ds_read_b32 v10, v44
	ds_read2_b32 v[6:7], v5 offset0:101 offset1:218
	ds_read2_b32 v[4:5], v12 offset0:96 offset1:213
	ds_read_b32 v13, v42
	ds_read_b32 v12, v45
                                        ; implicit-def: $vgpr15
                                        ; implicit-def: $vgpr27
	s_and_saveexec_b32 s1, s0
	s_cbranch_execz .LBB0_17
; %bb.16:
	ds_read_b32 v27, v42 offset:3900
	ds_read_b32 v20, v43
	ds_read_b32 v15, v42 offset:5928
.LBB0_17:
	s_or_b32 exec_lo, exec_lo, s1
	v_and_b32_e32 v21, 0xff, v37
	v_and_b32_e32 v26, 0xff, v38
	v_mov_b32_e32 v28, 0x4ec5
	v_mov_b32_e32 v32, 4
	;; [unrolled: 1-line block ×3, first 2 shown]
	v_mul_lo_u16 v14, 0x4f, v21
	v_mul_lo_u16 v29, 0x4f, v26
	v_mul_u32_u24_sdwa v33, v40, v28 dst_sel:DWORD dst_unused:UNUSED_PAD src0_sel:WORD_0 src1_sel:DWORD
	v_lshrrev_b16 v30, 10, v14
	v_mul_u32_u24_sdwa v14, v41, v28 dst_sel:DWORD dst_unused:UNUSED_PAD src0_sel:WORD_0 src1_sel:DWORD
	v_lshrrev_b16 v29, 10, v29
	v_mul_u32_u24_sdwa v28, v39, v28 dst_sel:DWORD dst_unused:UNUSED_PAD src0_sel:WORD_0 src1_sel:DWORD
	v_lshrrev_b32_e32 v33, 18, v33
	v_mul_lo_u16 v31, v30, 13
	v_lshrrev_b32_e32 v34, 18, v14
	v_mul_lo_u16 v14, v29, 13
	;; [unrolled: 2-line block ×3, first 2 shown]
	v_sub_nc_u16 v31, v37, v31
	v_mul_lo_u16 v35, v34, 13
	v_sub_nc_u16 v54, v38, v14
	v_sub_nc_u16 v55, v40, v55
	v_lshlrev_b32_sdwa v14, v32, v31 dst_sel:DWORD dst_unused:UNUSED_PAD src0_sel:DWORD src1_sel:BYTE_0
	v_sub_nc_u16 v35, v41, v35
	v_lshlrev_b32_sdwa v56, v32, v54 dst_sel:DWORD dst_unused:UNUSED_PAD src0_sel:DWORD src1_sel:BYTE_0
	v_lshlrev_b32_sdwa v31, v66, v31 dst_sel:DWORD dst_unused:UNUSED_PAD src0_sel:DWORD src1_sel:BYTE_0
	;; [unrolled: 1-line block ×3, first 2 shown]
	global_load_dwordx4 v[61:64], v14, s[8:9]
	v_lshlrev_b32_sdwa v57, v32, v35 dst_sel:DWORD dst_unused:UNUSED_PAD src0_sel:DWORD src1_sel:WORD_0
	global_load_dwordx4 v[68:71], v56, s[8:9]
	v_mul_lo_u16 v14, v28, 13
	v_lshlrev_b32_sdwa v56, v32, v55 dst_sel:DWORD dst_unused:UNUSED_PAD src0_sel:DWORD src1_sel:WORD_0
	v_lshlrev_b32_sdwa v55, v66, v55 dst_sel:DWORD dst_unused:UNUSED_PAD src0_sel:DWORD src1_sel:WORD_0
	global_load_dwordx4 v[72:75], v57, s[8:9]
	v_lshlrev_b32_sdwa v35, v66, v35 dst_sel:DWORD dst_unused:UNUSED_PAD src0_sel:DWORD src1_sel:WORD_0
	v_sub_nc_u16 v14, v39, v14
	v_mul_lo_u16 v28, v28, 39
	v_lshlrev_b32_sdwa v32, v32, v14 dst_sel:DWORD dst_unused:UNUSED_PAD src0_sel:DWORD src1_sel:WORD_0
	s_clause 0x1
	global_load_dwordx4 v[76:79], v56, s[8:9]
	global_load_dwordx4 v[80:83], v32, s[8:9]
	v_mov_b32_e32 v32, 0x9c
	s_waitcnt vmcnt(0) lgkmcnt(0)
	s_barrier
	buffer_gl0_inv
	v_mul_u32_u24_sdwa v30, v30, v32 dst_sel:DWORD dst_unused:UNUSED_PAD src0_sel:WORD_0 src1_sel:DWORD
	v_mul_u32_u24_sdwa v29, v29, v32 dst_sel:DWORD dst_unused:UNUSED_PAD src0_sel:WORD_0 src1_sel:DWORD
	v_mul_u32_u24_e32 v32, 0x9c, v34
	v_mul_u32_u24_e32 v34, 0x9c, v33
	v_add3_u32 v33, 0, v30, v31
	v_add3_u32 v31, 0, v29, v54
	;; [unrolled: 1-line block ×4, first 2 shown]
	v_mul_f32_e32 v59, v2, v62
	v_mul_f32_e32 v60, v8, v64
	;; [unrolled: 1-line block ×12, first 2 shown]
	v_fmac_f32_e32 v59, v18, v61
	v_fmac_f32_e32 v60, v16, v63
	;; [unrolled: 1-line block ×4, first 2 shown]
	v_mul_f32_e32 v32, v7, v77
	v_mul_f32_e32 v34, v27, v81
	;; [unrolled: 1-line block ×8, first 2 shown]
	v_fmac_f32_e32 v55, v24, v72
	v_fmac_f32_e32 v57, v22, v74
	;; [unrolled: 1-line block ×4, first 2 shown]
	v_fma_f32 v67, v2, v61, -v62
	v_fma_f32 v63, v8, v63, -v64
	;; [unrolled: 1-line block ×6, first 2 shown]
	v_fmac_f32_e32 v32, v25, v76
	v_fmac_f32_e32 v35, v23, v78
	v_fma_f32 v19, v27, v80, -v79
	v_fma_f32 v15, v15, v82, -v81
	v_add_f32_e32 v3, v59, v60
	v_add_f32_e32 v6, v56, v58
	;; [unrolled: 1-line block ×4, first 2 shown]
	v_fma_f32 v17, v7, v76, -v75
	v_fma_f32 v16, v5, v78, -v77
	v_add_f32_e32 v2, v51, v59
	v_sub_f32_e32 v4, v67, v63
	v_add_f32_e32 v5, v49, v56
	v_sub_f32_e32 v7, v65, v62
	;; [unrolled: 2-line block ×3, first 2 shown]
	v_add_f32_e32 v18, v50, v32
	v_add_f32_e32 v23, v32, v35
	;; [unrolled: 1-line block ×3, first 2 shown]
	v_sub_f32_e32 v52, v19, v15
	v_fmac_f32_e32 v51, -0.5, v3
	v_fmac_f32_e32 v49, -0.5, v6
	;; [unrolled: 1-line block ×4, first 2 shown]
	v_sub_f32_e32 v24, v17, v16
	v_add_f32_e32 v2, v2, v60
	v_add_f32_e32 v3, v5, v58
	v_add_f32_e32 v5, v8, v57
	v_add_f32_e32 v6, v18, v35
	v_fmac_f32_e32 v50, -0.5, v23
	v_add_f32_e32 v18, v25, v54
	v_fmamk_f32 v8, v4, 0xbf5db3d7, v51
	v_fmac_f32_e32 v51, 0x3f5db3d7, v4
	v_fmamk_f32 v4, v7, 0xbf5db3d7, v49
	v_fmac_f32_e32 v49, 0x3f5db3d7, v7
	;; [unrolled: 2-line block ×5, first 2 shown]
	ds_write2_b32 v33, v2, v8 offset1:13
	ds_write_b32 v33, v51 offset:104
	ds_write2_b32 v31, v3, v4 offset1:13
	ds_write_b32 v31, v49 offset:104
	;; [unrolled: 2-line block ×4, first 2 shown]
	s_and_saveexec_b32 s1, s0
	s_cbranch_execz .LBB0_19
; %bb.18:
	v_lshlrev_b32_sdwa v2, v66, v14 dst_sel:DWORD dst_unused:UNUSED_PAD src0_sel:DWORD src1_sel:WORD_0
	v_lshlrev_b32_sdwa v3, v66, v28 dst_sel:DWORD dst_unused:UNUSED_PAD src0_sel:DWORD src1_sel:WORD_0
	v_add3_u32 v2, 0, v2, v3
	ds_write2_b32 v2, v18, v22 offset1:13
	ds_write_b32 v2, v47 offset:104
.LBB0_19:
	s_or_b32 exec_lo, exec_lo, s1
	v_add_nc_u32_e32 v2, 0x600, v42
	v_add_nc_u32_e32 v4, 0xe00, v42
	v_add_nc_u32_e32 v6, 0xa00, v42
	v_add_nc_u32_e32 v7, 0x1200, v42
	s_waitcnt lgkmcnt(0)
	s_barrier
	buffer_gl0_inv
	ds_read2_b32 v[2:3], v2 offset0:123 offset1:240
	ds_read2_b32 v[4:5], v4 offset0:118 offset1:235
	ds_read_b32 v24, v46
	ds_read_b32 v23, v44
	ds_read2_b32 v[8:9], v6 offset0:101 offset1:218
	ds_read2_b32 v[6:7], v7 offset0:96 offset1:213
	ds_read_b32 v27, v42
	ds_read_b32 v25, v45
	s_and_saveexec_b32 s1, s0
	s_cbranch_execz .LBB0_21
; %bb.20:
	ds_read_b32 v22, v42 offset:3900
	ds_read_b32 v18, v43
	ds_read_b32 v47, v42 offset:5928
.LBB0_21:
	s_or_b32 exec_lo, exec_lo, s1
	v_add_f32_e32 v48, v67, v63
	v_add_f32_e32 v49, v13, v67
	v_sub_f32_e32 v50, v59, v60
	v_add_f32_e32 v51, v65, v62
	v_add_f32_e32 v52, v64, v61
	v_fmac_f32_e32 v13, -0.5, v48
	v_add_f32_e32 v48, v11, v65
	v_add_f32_e32 v53, v10, v64
	v_fmac_f32_e32 v11, -0.5, v51
	v_fmac_f32_e32 v10, -0.5, v52
	v_fmamk_f32 v51, v50, 0x3f5db3d7, v13
	v_fmac_f32_e32 v13, 0xbf5db3d7, v50
	v_sub_f32_e32 v50, v56, v58
	v_sub_f32_e32 v52, v55, v57
	;; [unrolled: 1-line block ×4, first 2 shown]
	v_add_f32_e32 v49, v49, v63
	v_fmamk_f32 v55, v50, 0x3f5db3d7, v11
	v_fmac_f32_e32 v11, 0xbf5db3d7, v50
	v_add_f32_e32 v50, v53, v61
	v_add_f32_e32 v53, v17, v16
	v_fmamk_f32 v56, v52, 0x3f5db3d7, v10
	v_fmac_f32_e32 v10, 0xbf5db3d7, v52
	v_add_f32_e32 v52, v19, v15
	v_add_f32_e32 v17, v12, v17
	v_fmac_f32_e32 v12, -0.5, v53
	v_add_f32_e32 v19, v20, v19
	v_add_f32_e32 v48, v48, v62
	v_fmac_f32_e32 v20, -0.5, v52
	v_add_f32_e32 v16, v17, v16
	v_fmamk_f32 v17, v32, 0x3f5db3d7, v12
	v_fmac_f32_e32 v12, 0xbf5db3d7, v32
	v_add_f32_e32 v19, v19, v15
	v_fmamk_f32 v32, v34, 0x3f5db3d7, v20
	v_fmac_f32_e32 v20, 0xbf5db3d7, v34
	s_waitcnt lgkmcnt(0)
	s_barrier
	buffer_gl0_inv
	ds_write2_b32 v33, v49, v51 offset1:13
	ds_write_b32 v33, v13 offset:104
	ds_write2_b32 v31, v48, v55 offset1:13
	ds_write_b32 v31, v11 offset:104
	;; [unrolled: 2-line block ×4, first 2 shown]
	s_and_saveexec_b32 s1, s0
	s_cbranch_execz .LBB0_23
; %bb.22:
	v_mov_b32_e32 v10, 2
	v_lshlrev_b32_sdwa v11, v10, v14 dst_sel:DWORD dst_unused:UNUSED_PAD src0_sel:DWORD src1_sel:WORD_0
	v_lshlrev_b32_sdwa v10, v10, v28 dst_sel:DWORD dst_unused:UNUSED_PAD src0_sel:DWORD src1_sel:WORD_0
	v_add3_u32 v10, 0, v11, v10
	ds_write2_b32 v10, v19, v32 offset1:13
	ds_write_b32 v10, v20 offset:104
.LBB0_23:
	s_or_b32 exec_lo, exec_lo, s1
	v_add_nc_u32_e32 v10, 0x600, v42
	v_add_nc_u32_e32 v12, 0xe00, v42
	;; [unrolled: 1-line block ×4, first 2 shown]
	s_waitcnt lgkmcnt(0)
	s_barrier
	buffer_gl0_inv
	ds_read2_b32 v[10:11], v10 offset0:123 offset1:240
	ds_read2_b32 v[12:13], v12 offset0:118 offset1:235
	ds_read_b32 v29, v46
	ds_read_b32 v28, v44
	ds_read2_b32 v[16:17], v14 offset0:101 offset1:218
	ds_read2_b32 v[14:15], v15 offset0:96 offset1:213
	ds_read_b32 v31, v42
	ds_read_b32 v30, v45
	s_and_saveexec_b32 s1, s0
	s_cbranch_execz .LBB0_25
; %bb.24:
	ds_read_b32 v32, v42 offset:3900
	ds_read_b32 v19, v43
	ds_read_b32 v20, v42 offset:5928
.LBB0_25:
	s_or_b32 exec_lo, exec_lo, s1
	v_mul_lo_u16 v21, 0xa5, v21
	v_mov_b32_e32 v33, 0xa41b
	v_mul_lo_u16 v26, 0xa5, v26
	v_mov_b32_e32 v50, 4
	v_lshrrev_b16 v21, 8, v21
	v_mul_u32_u24_sdwa v34, v41, v33 dst_sel:DWORD dst_unused:UNUSED_PAD src0_sel:WORD_0 src1_sel:DWORD
	v_mul_u32_u24_sdwa v35, v40, v33 dst_sel:DWORD dst_unused:UNUSED_PAD src0_sel:WORD_0 src1_sel:DWORD
	;; [unrolled: 1-line block ×3, first 2 shown]
	v_lshrrev_b16 v26, 8, v26
	v_sub_nc_u16 v48, v37, v21
	v_lshrrev_b32_e32 v34, 16, v34
	v_lshrrev_b32_e32 v35, 16, v35
	;; [unrolled: 1-line block ×3, first 2 shown]
	v_sub_nc_u16 v51, v38, v26
	v_lshrrev_b16 v48, 1, v48
	v_sub_nc_u16 v49, v41, v34
	v_sub_nc_u16 v52, v40, v35
	v_lshrrev_b16 v51, 1, v51
	v_and_b32_e32 v48, 0x7f, v48
	v_lshrrev_b16 v49, 1, v49
	v_lshrrev_b16 v52, 1, v52
	v_add_nc_u16 v21, v48, v21
	v_sub_nc_u16 v48, v39, v33
	v_add_nc_u16 v34, v49, v34
	v_and_b32_e32 v49, 0x7f, v51
	v_add_nc_u16 v35, v52, v35
	v_lshrrev_b16 v21, 5, v21
	v_lshrrev_b16 v48, 1, v48
	;; [unrolled: 1-line block ×3, first 2 shown]
	v_add_nc_u16 v26, v49, v26
	v_lshrrev_b16 v35, 5, v35
	v_and_b32_e32 v21, 7, v21
	v_add_nc_u16 v33, v48, v33
	v_mul_lo_u16 v49, v34, 39
	v_lshrrev_b16 v26, 5, v26
	v_mul_lo_u16 v51, v35, 39
	v_mul_lo_u16 v48, v21, 39
	v_lshrrev_b16 v33, 5, v33
	v_sub_nc_u16 v41, v41, v49
	v_and_b32_e32 v26, 7, v26
	v_sub_nc_u16 v40, v40, v51
	v_sub_nc_u16 v48, v37, v48
	v_mul_lo_u16 v33, v33, 39
	v_lshlrev_b32_sdwa v49, v50, v41 dst_sel:DWORD dst_unused:UNUSED_PAD src0_sel:DWORD src1_sel:WORD_0
	v_mul_lo_u16 v51, v26, 39
	v_lshlrev_b32_sdwa v52, v50, v40 dst_sel:DWORD dst_unused:UNUSED_PAD src0_sel:DWORD src1_sel:WORD_0
	v_sub_nc_u16 v33, v39, v33
	global_load_dwordx4 v[54:57], v49, s[8:9] offset:208
	v_sub_nc_u16 v38, v38, v51
	global_load_dwordx4 v[58:61], v52, s[8:9] offset:208
	v_and_b32_e32 v39, 0xffff, v33
	v_lshlrev_b32_e32 v33, 4, v39
	global_load_dwordx4 v[70:73], v33, s[8:9] offset:208
	v_lshlrev_b32_sdwa v49, v50, v48 dst_sel:DWORD dst_unused:UNUSED_PAD src0_sel:DWORD src1_sel:BYTE_0
	v_lshlrev_b32_sdwa v50, v50, v38 dst_sel:DWORD dst_unused:UNUSED_PAD src0_sel:DWORD src1_sel:BYTE_0
	v_mov_b32_e32 v33, 0x1d4
	s_clause 0x1
	global_load_dwordx4 v[62:65], v49, s[8:9] offset:208
	global_load_dwordx4 v[66:69], v50, s[8:9] offset:208
	v_mov_b32_e32 v49, 2
	v_mul_u32_u24_sdwa v34, v34, v33 dst_sel:DWORD dst_unused:UNUSED_PAD src0_sel:WORD_0 src1_sel:DWORD
	v_mul_u32_u24_sdwa v35, v35, v33 dst_sel:DWORD dst_unused:UNUSED_PAD src0_sel:WORD_0 src1_sel:DWORD
	;; [unrolled: 1-line block ×3, first 2 shown]
	s_waitcnt vmcnt(0) lgkmcnt(0)
	v_lshlrev_b32_sdwa v21, v49, v41 dst_sel:DWORD dst_unused:UNUSED_PAD src0_sel:DWORD src1_sel:WORD_0
	v_lshlrev_b32_sdwa v40, v49, v40 dst_sel:DWORD dst_unused:UNUSED_PAD src0_sel:DWORD src1_sel:WORD_0
	v_mul_u32_u24_sdwa v41, v26, v33 dst_sel:DWORD dst_unused:UNUSED_PAD src0_sel:WORD_0 src1_sel:DWORD
	v_lshlrev_b32_sdwa v48, v49, v48 dst_sel:DWORD dst_unused:UNUSED_PAD src0_sel:DWORD src1_sel:BYTE_0
	v_lshlrev_b32_sdwa v38, v49, v38 dst_sel:DWORD dst_unused:UNUSED_PAD src0_sel:DWORD src1_sel:BYTE_0
	v_add3_u32 v33, 0, v34, v21
	v_add3_u32 v26, 0, v35, v40
	v_lshl_add_u32 v21, v39, 2, 0
	v_add3_u32 v35, 0, v50, v48
	v_add3_u32 v34, 0, v41, v38
	s_barrier
	buffer_gl0_inv
	v_mul_f32_e32 v48, v16, v55
	v_mul_f32_e32 v40, v8, v55
	;; [unrolled: 1-line block ×8, first 2 shown]
	v_fmac_f32_e32 v48, v8, v54
	v_fma_f32 v8, v16, v54, -v40
	v_fma_f32 v40, v14, v56, -v41
	v_fmac_f32_e32 v49, v6, v56
	v_fmac_f32_e32 v38, v9, v58
	v_fma_f32 v6, v17, v58, -v55
	v_mul_f32_e32 v14, v47, v73
	v_mul_f32_e32 v16, v32, v71
	;; [unrolled: 1-line block ×3, first 2 shown]
	v_fmac_f32_e32 v39, v7, v60
	v_mul_f32_e32 v17, v20, v73
	v_fma_f32 v41, v15, v60, -v57
	v_mul_f32_e32 v52, v10, v63
	v_mul_f32_e32 v53, v12, v65
	;; [unrolled: 1-line block ×7, first 2 shown]
	v_fmac_f32_e32 v52, v2, v62
	v_fmac_f32_e32 v53, v4, v64
	v_mul_f32_e32 v65, v5, v69
	v_fmac_f32_e32 v50, v3, v66
	v_fmac_f32_e32 v51, v5, v68
	v_fma_f32 v7, v10, v62, -v59
	v_fma_f32 v4, v12, v64, -v61
	;; [unrolled: 1-line block ×4, first 2 shown]
	v_add_f32_e32 v20, v52, v53
	v_fma_f32 v2, v13, v68, -v65
	v_add_f32_e32 v54, v50, v51
	v_fmac_f32_e32 v16, v22, v70
	v_fma_f32 v22, v32, v70, -v9
	v_add_f32_e32 v9, v48, v49
	v_add_f32_e32 v12, v25, v38
	;; [unrolled: 1-line block ×4, first 2 shown]
	v_sub_f32_e32 v32, v7, v4
	v_fmac_f32_e32 v27, -0.5, v20
	v_fmac_f32_e32 v17, v47, v72
	v_add_f32_e32 v47, v24, v50
	v_sub_f32_e32 v55, v3, v2
	v_fmac_f32_e32 v24, -0.5, v54
	v_add_f32_e32 v5, v23, v48
	v_sub_f32_e32 v10, v8, v40
	v_fmac_f32_e32 v23, -0.5, v9
	v_sub_f32_e32 v14, v6, v41
	v_add_f32_e32 v9, v12, v39
	v_fmac_f32_e32 v25, -0.5, v13
	v_add_f32_e32 v12, v15, v53
	v_fmamk_f32 v20, v32, 0xbf5db3d7, v27
	v_fmac_f32_e32 v27, 0x3f5db3d7, v32
	v_add_f32_e32 v13, v47, v51
	v_fmamk_f32 v32, v55, 0xbf5db3d7, v24
	v_fmac_f32_e32 v24, 0x3f5db3d7, v55
	;; [unrolled: 3-line block ×3, first 2 shown]
	v_fmamk_f32 v10, v14, 0xbf5db3d7, v25
	v_fmac_f32_e32 v25, 0x3f5db3d7, v14
	ds_write2_b32 v35, v12, v20 offset1:39
	ds_write_b32 v35, v27 offset:312
	ds_write2_b32 v34, v13, v32 offset1:39
	ds_write_b32 v34, v24 offset:312
	;; [unrolled: 2-line block ×4, first 2 shown]
	s_and_saveexec_b32 s1, s0
	s_cbranch_execz .LBB0_27
; %bb.26:
	v_add_f32_e32 v5, v16, v17
	v_sub_f32_e32 v9, v22, v11
	v_add_f32_e32 v10, v18, v16
	v_add_nc_u32_e32 v12, 0x1400, v21
	v_fma_f32 v5, -0.5, v5, v18
	v_add_f32_e32 v10, v10, v17
	v_fmamk_f32 v13, v9, 0x3f5db3d7, v5
	v_fmac_f32_e32 v5, 0xbf5db3d7, v9
	ds_write2_b32 v12, v10, v5 offset0:124 offset1:163
	ds_write_b32 v21, v13 offset:5928
.LBB0_27:
	s_or_b32 exec_lo, exec_lo, s1
	v_add_f32_e32 v5, v7, v4
	v_add_f32_e32 v7, v31, v7
	;; [unrolled: 1-line block ×4, first 2 shown]
	v_sub_f32_e32 v9, v52, v53
	v_fmac_f32_e32 v31, -0.5, v5
	v_sub_f32_e32 v5, v50, v51
	v_add_f32_e32 v18, v7, v4
	v_fmac_f32_e32 v29, -0.5, v10
	v_add_f32_e32 v4, v8, v40
	v_add_f32_e32 v23, v3, v2
	v_add_nc_u32_e32 v2, 0x800, v42
	v_add_nc_u32_e32 v3, 0xc00, v42
	v_add_f32_e32 v25, v28, v8
	v_add_f32_e32 v32, v30, v6
	;; [unrolled: 1-line block ×3, first 2 shown]
	v_add_nc_u32_e32 v6, 0x1000, v42
	v_add_nc_u32_e32 v8, 0x1400, v42
	v_fmamk_f32 v20, v9, 0x3f5db3d7, v31
	v_fmac_f32_e32 v31, 0xbf5db3d7, v9
	v_fmamk_f32 v24, v5, 0x3f5db3d7, v29
	v_fmac_f32_e32 v29, 0xbf5db3d7, v5
	v_fmac_f32_e32 v28, -0.5, v4
	s_waitcnt lgkmcnt(0)
	s_barrier
	buffer_gl0_inv
	ds_read_b32 v14, v46
	ds_read_b32 v13, v44
	;; [unrolled: 1-line block ×5, first 2 shown]
	ds_read2_b32 v[4:5], v2 offset0:73 offset1:190
	ds_read2_b32 v[2:3], v3 offset0:51 offset1:168
	;; [unrolled: 1-line block ×4, first 2 shown]
	v_sub_f32_e32 v27, v48, v49
	v_fmac_f32_e32 v30, -0.5, v47
	v_sub_f32_e32 v38, v38, v39
	v_add_f32_e32 v25, v25, v40
	s_waitcnt lgkmcnt(0)
	v_fmamk_f32 v39, v27, 0x3f5db3d7, v28
	v_fmac_f32_e32 v28, 0xbf5db3d7, v27
	v_add_f32_e32 v27, v32, v41
	v_fmamk_f32 v32, v38, 0x3f5db3d7, v30
	v_fmac_f32_e32 v30, 0xbf5db3d7, v38
	s_barrier
	buffer_gl0_inv
	ds_write2_b32 v35, v18, v20 offset1:39
	ds_write_b32 v35, v31 offset:312
	ds_write2_b32 v34, v23, v24 offset1:39
	ds_write_b32 v34, v29 offset:312
	;; [unrolled: 2-line block ×4, first 2 shown]
	s_and_saveexec_b32 s1, s0
	s_cbranch_execz .LBB0_29
; %bb.28:
	v_add_f32_e32 v18, v22, v11
	v_add_f32_e32 v20, v19, v22
	v_sub_f32_e32 v16, v16, v17
	v_add_nc_u32_e32 v17, 0x1400, v21
	v_fmac_f32_e32 v19, -0.5, v18
	v_add_f32_e32 v11, v20, v11
	v_fmamk_f32 v18, v16, 0x3f5db3d7, v19
	v_fmamk_f32 v16, v16, 0xbf5db3d7, v19
	ds_write2_b32 v17, v11, v18 offset0:124 offset1:163
	ds_write_b32 v21, v16 offset:5928
.LBB0_29:
	s_or_b32 exec_lo, exec_lo, s1
	s_waitcnt lgkmcnt(0)
	s_barrier
	buffer_gl0_inv
	s_and_saveexec_b32 s0, vcc_lo
	s_cbranch_execz .LBB0_31
; %bb.30:
	v_mul_u32_u24_e32 v11, 12, v37
	v_add_nc_u32_e32 v16, 0x800, v42
	v_add_nc_u32_e32 v17, 0xc00, v42
	v_lshlrev_b32_e32 v11, 3, v11
	s_clause 0x5
	global_load_dwordx4 v[23:26], v11, s[8:9] offset:912
	global_load_dwordx4 v[27:30], v11, s[8:9] offset:832
	;; [unrolled: 1-line block ×6, first 2 shown]
	v_add_nc_u32_e32 v11, 0x1400, v42
	ds_read_b32 v21, v46
	ds_read2_b32 v[58:59], v11 offset0:7 offset1:124
	v_add_nc_u32_e32 v11, 0x1000, v42
	ds_read_b32 v35, v44
	ds_read_b32 v41, v45
	ds_read2_b32 v[44:45], v11 offset0:29 offset1:146
	ds_read_b32 v46, v43
	ds_read_b32 v11, v42
	ds_read2_b32 v[42:43], v16 offset0:73 offset1:190
	ds_read2_b32 v[60:61], v17 offset0:51 offset1:168
	s_waitcnt vmcnt(5)
	v_mul_f32_e32 v20, v9, v26
	s_waitcnt vmcnt(4)
	v_mul_f32_e32 v56, v14, v28
	s_waitcnt lgkmcnt(8)
	v_mul_f32_e32 v64, v21, v28
	s_waitcnt lgkmcnt(7)
	v_mul_f32_e32 v16, v59, v26
	v_mul_f32_e32 v62, v8, v24
	v_mul_f32_e32 v63, v13, v30
	s_waitcnt lgkmcnt(6)
	v_mul_f32_e32 v66, v35, v30
	s_waitcnt vmcnt(2)
	v_mul_f32_e32 v30, v15, v38
	s_waitcnt lgkmcnt(5)
	v_mul_f32_e32 v57, v41, v38
	v_mul_f32_e32 v38, v6, v32
	s_waitcnt lgkmcnt(4)
	v_mul_f32_e32 v19, v44, v32
	s_waitcnt vmcnt(1)
	v_mul_f32_e32 v32, v3, v50
	s_waitcnt lgkmcnt(0)
	v_mul_f32_e32 v22, v61, v50
	v_mul_f32_e32 v50, v2, v48
	;; [unrolled: 1-line block ×3, first 2 shown]
	v_fma_f32 v20, v59, v25, -v20
	v_fma_f32 v48, v21, v27, -v56
	v_mul_f32_e32 v17, v58, v24
	v_mul_f32_e32 v24, v7, v34
	v_fmac_f32_e32 v64, v14, v27
	v_fmac_f32_e32 v16, v9, v25
	v_fma_f32 v21, v58, v23, -v62
	v_fma_f32 v67, v35, v29, -v63
	v_fma_f32 v63, v41, v37, -v30
	v_fmac_f32_e32 v57, v15, v37
	v_add_f32_e32 v37, v20, v48
	v_mul_f32_e32 v65, v12, v40
	v_mul_f32_e32 v55, v46, v40
	v_fmac_f32_e32 v66, v13, v29
	v_fmac_f32_e32 v17, v8, v23
	v_fma_f32 v23, v45, v33, -v24
	v_fma_f32 v24, v44, v31, -v38
	v_sub_f32_e32 v15, v64, v16
	v_add_f32_e32 v38, v21, v67
	v_sub_f32_e32 v68, v48, v20
	v_mul_f32_e32 v71, 0xbf788fa5, v37
	v_mul_f32_e32 v18, v45, v34
	v_fma_f32 v62, v46, v39, -v65
	v_fmac_f32_e32 v55, v12, v39
	v_sub_f32_e32 v14, v66, v17
	v_add_f32_e32 v12, v16, v64
	v_sub_f32_e32 v69, v67, v21
	v_add_f32_e32 v39, v11, v48
	v_add_f32_e32 v41, v10, v64
	v_mul_f32_e32 v72, 0x3f62ad3f, v38
	v_mul_f32_e32 v75, 0xbe750f2a, v68
	v_mul_f32_e32 v79, 0xbf3f9e67, v37
	v_mul_f32_e32 v87, 0xbeb58ec6, v37
	v_mul_f32_e32 v90, 0xbf6f5d39, v68
	v_fmamk_f32 v98, v15, 0x3e750f2a, v71
	s_waitcnt vmcnt(0)
	v_mul_f32_e32 v40, v4, v52
	v_mul_f32_e32 v34, v42, v52
	;; [unrolled: 1-line block ×4, first 2 shown]
	v_fmac_f32_e32 v18, v7, v33
	v_fma_f32 v27, v60, v47, -v50
	v_fmac_f32_e32 v26, v2, v47
	v_add_f32_e32 v47, v23, v63
	v_add_f32_e32 v9, v17, v66
	v_mul_f32_e32 v76, 0x3eedf032, v69
	v_mul_f32_e32 v80, 0x3df6dbef, v38
	;; [unrolled: 1-line block ×6, first 2 shown]
	v_add_f32_e32 v93, v39, v67
	v_add_f32_e32 v94, v41, v66
	v_fmamk_f32 v99, v12, 0xbf788fa5, v75
	v_fmamk_f32 v100, v14, 0xbeedf032, v72
	;; [unrolled: 1-line block ×5, first 2 shown]
	v_add_f32_e32 v98, v11, v98
	v_fma_f32 v90, 0xbeb58ec6, v12, -v90
	v_fmac_f32_e32 v19, v6, v31
	v_fma_f32 v31, v43, v53, -v52
	v_fmac_f32_e32 v28, v5, v53
	v_sub_f32_e32 v13, v57, v18
	v_add_f32_e32 v8, v18, v57
	v_sub_f32_e32 v53, v63, v23
	v_mul_f32_e32 v81, 0x3f116cb1, v47
	v_mul_f32_e32 v84, 0x3f7e222b, v69
	;; [unrolled: 1-line block ×6, first 2 shown]
	v_fmamk_f32 v101, v9, 0x3f62ad3f, v76
	v_fmamk_f32 v103, v14, 0xbf7e222b, v80
	;; [unrolled: 1-line block ×3, first 2 shown]
	v_add_f32_e32 v63, v93, v63
	v_fmamk_f32 v93, v14, 0xbf29c268, v88
	v_add_f32_e32 v57, v94, v57
	v_fmamk_f32 v94, v9, 0xbf3f9e67, v91
	v_add_f32_e32 v99, v10, v99
	v_add_f32_e32 v98, v98, v100
	v_fmamk_f32 v100, v12, 0x3df6dbef, v50
	v_add_f32_e32 v102, v11, v102
	v_add_f32_e32 v106, v11, v106
	v_fma_f32 v83, 0xbf3f9e67, v12, -v83
	v_fmac_f32_e32 v87, 0xbf6f5d39, v15
	v_fma_f32 v91, 0xbf3f9e67, v9, -v91
	v_add_f32_e32 v90, v10, v90
	v_fma_f32 v25, v61, v49, -v32
	v_fma_f32 v42, v42, v51, -v40
	v_fmac_f32_e32 v22, v3, v49
	v_add_f32_e32 v35, v24, v62
	v_sub_f32_e32 v40, v62, v24
	v_mul_f32_e32 v73, 0xbf3f9e67, v47
	v_mul_f32_e32 v77, 0xbf29c268, v53
	;; [unrolled: 1-line block ×8, first 2 shown]
	v_fmamk_f32 v105, v9, 0x3df6dbef, v84
	v_add_f32_e32 v62, v63, v62
	v_fmamk_f32 v63, v15, 0x3f7e222b, v54
	v_add_f32_e32 v99, v99, v101
	;; [unrolled: 2-line block ×3, first 2 shown]
	v_add_f32_e32 v102, v102, v103
	v_fmamk_f32 v103, v15, 0x3f52af12, v46
	v_add_f32_e32 v107, v10, v107
	v_add_f32_e32 v93, v106, v93
	v_fmamk_f32 v106, v12, 0x3f116cb1, v44
	v_add_f32_e32 v100, v10, v100
	v_fma_f32 v84, 0x3df6dbef, v9, -v84
	v_add_f32_e32 v83, v10, v83
	v_fmac_f32_e32 v88, 0x3f29c268, v14
	v_add_f32_e32 v87, v11, v87
	v_add_f32_e32 v90, v90, v91
	v_fmamk_f32 v91, v13, 0x3f52af12, v81
	v_sub_f32_e32 v7, v55, v19
	v_add_f32_e32 v5, v19, v55
	v_mul_f32_e32 v85, 0xbf52af12, v53
	v_mul_f32_e32 v89, 0x3f62ad3f, v47
	;; [unrolled: 1-line block ×5, first 2 shown]
	v_add_f32_e32 v55, v57, v55
	v_fmamk_f32 v57, v14, 0x3e750f2a, v49
	v_add_f32_e32 v104, v104, v105
	v_fmamk_f32 v105, v14, 0x3f6f5d39, v45
	v_add_f32_e32 v63, v11, v63
	v_add_f32_e32 v94, v107, v94
	v_fmamk_f32 v107, v9, 0xbeb58ec6, v43
	v_add_f32_e32 v103, v11, v103
	v_add_f32_e32 v106, v10, v106
	;; [unrolled: 1-line block ×3, first 2 shown]
	v_fmamk_f32 v101, v12, 0x3f62ad3f, v38
	v_fmac_f32_e32 v71, 0xbe750f2a, v15
	v_add_f32_e32 v83, v83, v84
	v_fmamk_f32 v84, v13, 0x3f29c268, v73
	v_add_f32_e32 v87, v87, v88
	v_fmamk_f32 v88, v8, 0xbf3f9e67, v77
	;; [unrolled: 2-line block ×3, first 2 shown]
	v_fmac_f32_e32 v34, v4, v51
	v_mul_f32_e32 v69, 0xbeb58ec6, v47
	v_mul_f32_e32 v97, 0x3f6f5d39, v53
	;; [unrolled: 1-line block ×3, first 2 shown]
	v_add_f32_e32 v57, v63, v57
	v_fmamk_f32 v63, v15, 0x3eedf032, v41
	v_add_f32_e32 v103, v103, v105
	v_add_f32_e32 v106, v106, v107
	v_fmamk_f32 v107, v9, 0x3f116cb1, v37
	v_add_f32_e32 v101, v10, v101
	v_mul_f32_e32 v53, 0xbf7e222b, v53
	v_fma_f32 v75, 0xbf788fa5, v12, -v75
	v_fmac_f32_e32 v72, 0x3eedf032, v14
	v_add_f32_e32 v71, v11, v71
	v_add_f32_e32 v84, v98, v84
	v_fmamk_f32 v98, v8, 0x3f116cb1, v85
	v_add_f32_e32 v88, v99, v88
	v_fmamk_f32 v99, v13, 0xbeedf032, v89
	;; [unrolled: 2-line block ×3, first 2 shown]
	v_add_f32_e32 v30, v25, v42
	v_sub_f32_e32 v6, v34, v22
	v_add_f32_e32 v4, v22, v34
	v_fmamk_f32 v105, v14, 0x3f52af12, v39
	v_add_f32_e32 v63, v11, v63
	v_mul_f32_e32 v108, 0x3df6dbef, v47
	v_add_f32_e32 v101, v101, v107
	v_add_f32_e32 v34, v55, v34
	v_fmac_f32_e32 v79, 0xbf29c268, v15
	v_fma_f32 v76, 0x3f62ad3f, v9, -v76
	v_add_f32_e32 v75, v10, v75
	v_add_f32_e32 v71, v71, v72
	;; [unrolled: 1-line block ×3, first 2 shown]
	v_fmamk_f32 v104, v13, 0xbf6f5d39, v69
	v_add_f32_e32 v93, v93, v99
	v_fmamk_f32 v99, v8, 0xbeb58ec6, v97
	v_add_f32_e32 v102, v103, v102
	v_fmamk_f32 v103, v8, 0x3df6dbef, v53
	v_fmac_f32_e32 v73, 0xbf29c268, v13
	v_add_f32_e32 v29, v27, v31
	v_sub_f32_e32 v2, v28, v26
	v_sub_f32_e32 v33, v42, v25
	v_add_f32_e32 v3, v26, v28
	v_sub_f32_e32 v32, v31, v27
	v_mul_f32_e32 v74, 0x3f116cb1, v35
	v_mul_f32_e32 v56, 0xbeb58ec6, v30
	;; [unrolled: 1-line block ×5, first 2 shown]
	v_add_f32_e32 v47, v63, v105
	v_add_f32_e32 v42, v62, v42
	v_mul_f32_e32 v55, 0x3f116cb1, v30
	v_fmac_f32_e32 v80, 0x3f7e222b, v14
	v_add_f32_e32 v79, v11, v79
	v_add_f32_e32 v75, v75, v76
	;; [unrolled: 1-line block ×3, first 2 shown]
	v_fmamk_f32 v104, v8, 0xbf788fa5, v66
	v_add_f32_e32 v99, v100, v99
	v_fmamk_f32 v100, v13, 0x3f7e222b, v108
	v_add_f32_e32 v101, v101, v103
	v_mul_f32_e32 v103, 0x3df6dbef, v30
	v_add_f32_e32 v28, v34, v28
	v_add_f32_e32 v34, v71, v73
	v_mul_f32_e32 v73, 0xbf3f9e67, v30
	v_fma_f32 v30, 0xbf3f9e67, v8, -v77
	v_mul_f32_e32 v51, 0x3df6dbef, v29
	v_mul_f32_e32 v59, 0x3f7e222b, v32
	;; [unrolled: 1-line block ×12, first 2 shown]
	v_add_f32_e32 v79, v79, v80
	v_add_f32_e32 v104, v106, v104
	v_mul_f32_e32 v106, 0xbf3f9e67, v29
	v_add_f32_e32 v47, v47, v100
	v_mul_f32_e32 v100, 0xbf29c268, v32
	;; [unrolled: 2-line block ×3, first 2 shown]
	v_mul_f32_e32 v71, 0x3eedf032, v32
	v_mul_f32_e32 v77, 0xbf788fa5, v29
	;; [unrolled: 1-line block ×3, first 2 shown]
	v_fmac_f32_e32 v81, 0xbf52af12, v13
	v_fma_f32 v29, 0x3f116cb1, v8, -v85
	v_add_f32_e32 v30, v75, v30
	v_fmamk_f32 v32, v7, 0xbf52af12, v74
	v_fmac_f32_e32 v89, 0x3eedf032, v13
	v_fmamk_f32 v75, v5, 0x3f116cb1, v78
	v_mul_f32_e32 v64, 0xbf6f5d39, v33
	v_mul_f32_e32 v65, 0x3eedf032, v33
	;; [unrolled: 1-line block ×10, first 2 shown]
	v_add_f32_e32 v33, v79, v81
	v_add_f32_e32 v29, v83, v29
	;; [unrolled: 1-line block ×3, first 2 shown]
	v_fmamk_f32 v81, v7, 0xbe750f2a, v82
	v_add_f32_e32 v32, v84, v32
	v_fmamk_f32 v83, v5, 0xbf788fa5, v86
	v_add_f32_e32 v75, v88, v75
	v_fmamk_f32 v84, v7, 0x3f7e222b, v92
	v_fmamk_f32 v85, v5, 0x3df6dbef, v95
	;; [unrolled: 1-line block ×4, first 2 shown]
	v_fmac_f32_e32 v74, 0x3f52af12, v7
	v_add_f32_e32 v27, v27, v31
	v_add_f32_e32 v26, v26, v28
	v_fmamk_f32 v42, v6, 0x3f6f5d39, v56
	v_add_f32_e32 v81, v91, v81
	v_add_f32_e32 v83, v98, v83
	;; [unrolled: 1-line block ×4, first 2 shown]
	v_fmamk_f32 v89, v7, 0xbf29c268, v76
	v_add_f32_e32 v57, v57, v87
	v_fmamk_f32 v87, v5, 0xbf3f9e67, v80
	v_add_f32_e32 v88, v99, v88
	v_fmamk_f32 v91, v7, 0x3f6f5d39, v35
	v_fmamk_f32 v93, v5, 0xbeb58ec6, v40
	;; [unrolled: 1-line block ×4, first 2 shown]
	v_add_f32_e32 v34, v34, v74
	v_fmamk_f32 v74, v4, 0x3f62ad3f, v65
	v_add_f32_e32 v99, v25, v27
	v_add_f32_e32 v22, v22, v26
	;; [unrolled: 1-line block ×7, first 2 shown]
	v_fmamk_f32 v42, v6, 0xbf7e222b, v103
	v_add_f32_e32 v75, v75, v94
	v_fmamk_f32 v94, v4, 0x3df6dbef, v107
	v_add_f32_e32 v31, v81, v31
	;; [unrolled: 2-line block ×4, first 2 shown]
	v_add_f32_e32 v19, v19, v22
	v_fmac_f32_e32 v82, 0x3e750f2a, v7
	v_fmac_f32_e32 v56, 0xbf6f5d39, v6
	v_add_f32_e32 v42, v89, v42
	v_add_f32_e32 v87, v87, v94
	v_fmamk_f32 v94, v2, 0xbeedf032, v109
	v_add_f32_e32 v47, v47, v81
	v_add_f32_e32 v83, v93, v83
	v_fmamk_f32 v93, v2, 0x3e750f2a, v77
	v_add_f32_e32 v23, v23, v24
	v_add_f32_e32 v24, v18, v19
	v_fma_f32 v78, 0x3f116cb1, v5, -v78
	v_fmac_f32_e32 v92, 0xbf7e222b, v7
	v_add_f32_e32 v33, v33, v82
	v_fmac_f32_e32 v58, 0x3eedf032, v6
	v_fma_f32 v61, 0x3f62ad3f, v8, -v61
	v_add_f32_e32 v56, v34, v56
	v_add_f32_e32 v34, v42, v94
	v_add_f32_e32 v19, v47, v93
	v_add_f32_e32 v42, v21, v23
	v_add_f32_e32 v47, v17, v24
	v_fmamk_f32 v28, v2, 0x3f6f5d39, v52
	v_add_f32_e32 v30, v30, v78
	v_fmamk_f32 v78, v6, 0xbe750f2a, v96
	v_fmamk_f32 v82, v4, 0xbf788fa5, v68
	v_add_f32_e32 v79, v79, v92
	v_fmac_f32_e32 v52, 0xbf6f5d39, v2
	v_fmac_f32_e32 v96, 0x3e750f2a, v6
	v_add_f32_e32 v58, v33, v58
	v_add_f32_e32 v17, v20, v42
	;; [unrolled: 1-line block ×4, first 2 shown]
	v_fma_f32 v47, 0x3df6dbef, v5, -v95
	v_fma_f32 v50, 0x3df6dbef, v12, -v50
	v_add_f32_e32 v82, v85, v82
	v_fmamk_f32 v85, v2, 0xbf52af12, v67
	v_add_f32_e32 v24, v58, v52
	v_add_f32_e32 v20, v79, v96
	v_fmac_f32_e32 v67, 0x3f52af12, v2
	v_add_f32_e32 v42, v42, v47
	v_fma_f32 v52, 0xbf788fa5, v4, -v68
	v_add_f32_e32 v50, v10, v50
	v_fma_f32 v48, 0xbf788fa5, v9, -v48
	v_fmac_f32_e32 v46, 0xbf52af12, v15
	v_add_f32_e32 v47, v20, v67
	v_add_f32_e32 v20, v42, v52
	v_fmac_f32_e32 v45, 0xbf6f5d39, v14
	v_add_f32_e32 v48, v50, v48
	v_fma_f32 v50, 0x3f116cb1, v3, -v63
	v_add_f32_e32 v46, v11, v46
	v_fmac_f32_e32 v70, 0xbe750f2a, v13
	v_fmac_f32_e32 v76, 0x3f29c268, v7
	v_fma_f32 v43, 0xbeb58ec6, v9, -v43
	v_fmamk_f32 v91, v2, 0xbf7e222b, v51
	v_add_f32_e32 v45, v46, v45
	v_add_f32_e32 v46, v20, v50
	v_fma_f32 v20, 0x3f116cb1, v12, -v44
	v_fmac_f32_e32 v51, 0x3f7e222b, v2
	v_fmac_f32_e32 v54, 0xbf7e222b, v15
	v_add_f32_e32 v45, v45, v70
	v_fmac_f32_e32 v41, 0xbeedf032, v15
	v_add_f32_e32 v20, v10, v20
	;; [unrolled: 2-line block ×3, first 2 shown]
	v_add_f32_e32 v15, v45, v76
	v_add_f32_e32 v51, v11, v54
	;; [unrolled: 1-line block ×3, first 2 shown]
	v_fma_f32 v43, 0xbf788fa5, v8, -v66
	v_fmac_f32_e32 v49, 0xbe750f2a, v14
	v_add_f32_e32 v11, v11, v41
	v_fmac_f32_e32 v39, 0xbf52af12, v14
	v_add_f32_e32 v14, v15, v103
	v_add_f32_e32 v15, v20, v43
	v_fma_f32 v20, 0xbf3f9e67, v5, -v80
	v_fma_f32 v12, 0x3f62ad3f, v12, -v38
	v_fmac_f32_e32 v69, 0x3f6f5d39, v13
	v_fmac_f32_e32 v105, 0x3eedf032, v7
	v_add_f32_e32 v11, v11, v39
	v_fmac_f32_e32 v108, 0xbf7e222b, v13
	v_add_f32_e32 v13, v15, v20
	v_fma_f32 v15, 0x3df6dbef, v4, -v107
	v_fmac_f32_e32 v35, 0xbf6f5d39, v7
	v_add_f32_e32 v7, v10, v12
	v_fma_f32 v9, 0x3f116cb1, v9, -v37
	v_fma_f32 v86, 0xbf788fa5, v5, -v86
	v_add_f32_e32 v49, v51, v49
	v_add_f32_e32 v11, v11, v108
	;; [unrolled: 1-line block ×3, first 2 shown]
	v_fma_f32 v12, 0x3f62ad3f, v3, -v71
	v_add_f32_e32 v13, v7, v9
	v_fma_f32 v15, 0x3df6dbef, v8, -v53
	v_add_f32_e32 v29, v29, v86
	v_fmamk_f32 v86, v6, 0x3f52af12, v55
	v_fmac_f32_e32 v55, 0xbf52af12, v6
	v_fmac_f32_e32 v73, 0xbf29c268, v6
	v_mad_u64_u32 v[6:7], null, s2, v36, 0
	v_fmamk_f32 v92, v4, 0x3f116cb1, v72
	v_add_f32_e32 v42, v49, v69
	v_fma_f32 v49, 0xbeb58ec6, v8, -v97
	v_fmac_f32_e32 v109, 0x3eedf032, v2
	v_add_f32_e32 v11, v11, v35
	v_add_f32_e32 v8, v10, v12
	;; [unrolled: 1-line block ×3, first 2 shown]
	v_add_nc_u32_e32 v15, 0x75, v36
	v_add_f32_e32 v88, v88, v92
	v_fmamk_f32 v92, v2, 0x3f29c268, v106
	v_add_f32_e32 v48, v48, v49
	v_fma_f32 v49, 0x3f62ad3f, v5, -v62
	v_fmac_f32_e32 v106, 0xbf29c268, v2
	v_fma_f32 v5, 0xbeb58ec6, v5, -v40
	v_fmac_f32_e32 v77, 0xbe750f2a, v2
	v_mov_b32_e32 v2, v7
	v_add_f32_e32 v9, v14, v109
	v_add_f32_e32 v14, v11, v73
	v_mad_u64_u32 v[10:11], null, s2, v15, 0
	v_add_nc_u32_e32 v20, 0xea, v36
	v_fma_f32 v64, 0xbeb58ec6, v4, -v64
	v_fma_f32 v65, 0x3f62ad3f, v4, -v65
	v_add_f32_e32 v48, v48, v49
	v_fma_f32 v49, 0x3f116cb1, v4, -v72
	v_add_f32_e32 v7, v12, v5
	v_fma_f32 v35, 0xbf3f9e67, v4, -v110
	v_mad_u64_u32 v[4:5], null, s3, v36, v[2:3]
	v_mad_u64_u32 v[12:13], null, s2, v20, 0
	v_mov_b32_e32 v2, v11
	v_add_f32_e32 v5, v14, v77
	v_add_f32_e32 v14, v7, v35
	v_fmamk_f32 v98, v3, 0x3df6dbef, v59
	v_mov_b32_e32 v7, v4
	v_add_f32_e32 v78, v84, v78
	v_fmamk_f32 v84, v3, 0xbeb58ec6, v60
	v_add_f32_e32 v57, v57, v86
	v_fmamk_f32 v86, v3, 0x3f116cb1, v63
	v_fmamk_f32 v89, v3, 0xbf3f9e67, v100
	;; [unrolled: 1-line block ×4, first 2 shown]
	v_fma_f32 v59, 0x3df6dbef, v3, -v59
	v_fma_f32 v60, 0xbeb58ec6, v3, -v60
	v_add_f32_e32 v44, v48, v49
	v_fma_f32 v48, 0xbf3f9e67, v3, -v100
	v_fma_f32 v35, 0xbf788fa5, v3, -v111
	v_mad_u64_u32 v[2:3], null, s3, v15, v[2:3]
	v_add_co_u32 v37, vcc_lo, s12, v0
	v_mov_b32_e32 v3, v13
	v_add_co_ci_u32_e32 v38, vcc_lo, s13, v1, vcc_lo
	v_lshlrev_b64 v[0:1], 3, v[6:7]
	v_mov_b32_e32 v11, v2
	v_mad_u64_u32 v[2:3], null, s3, v20, v[3:4]
	v_add_nc_u32_e32 v3, 0x15f, v36
	v_add_nc_u32_e32 v20, 0x249, v36
	v_add_co_u32 v0, vcc_lo, v37, v0
	v_add_co_ci_u32_e32 v1, vcc_lo, v38, v1, vcc_lo
	v_lshlrev_b64 v[6:7], 3, v[10:11]
	v_mad_u64_u32 v[10:11], null, s2, v3, 0
	global_store_dwordx2 v[0:1], v[16:17], off
	v_mov_b32_e32 v13, v2
	v_add_nc_u32_e32 v16, 0x1d4, v36
	v_add_co_u32 v0, vcc_lo, v37, v6
	v_add_co_ci_u32_e32 v1, vcc_lo, v38, v7, vcc_lo
	v_mov_b32_e32 v2, v11
	v_lshlrev_b64 v[6:7], 3, v[12:13]
	v_mad_u64_u32 v[12:13], null, s2, v16, 0
	v_add_f32_e32 v4, v14, v35
	v_mad_u64_u32 v[2:3], null, s3, v3, v[2:3]
	v_mad_u64_u32 v[14:15], null, s2, v20, 0
	v_add_nc_u32_e32 v35, 0x2be, v36
	v_mov_b32_e32 v3, v13
	v_add_f32_e32 v18, v83, v101
	v_add_co_u32 v6, vcc_lo, v37, v6
	v_mov_b32_e32 v11, v2
	v_mad_u64_u32 v[16:17], null, s3, v16, v[3:4]
	v_mad_u64_u32 v[2:3], null, s2, v35, 0
	global_store_dwordx2 v[0:1], v[18:19], off
	v_mov_b32_e32 v0, v15
	v_add_f32_e32 v33, v87, v81
	v_add_co_ci_u32_e32 v7, vcc_lo, v38, v7, vcc_lo
	v_mov_b32_e32 v13, v16
	v_mad_u64_u32 v[0:1], null, s3, v20, v[0:1]
	global_store_dwordx2 v[6:7], v[33:34], off
	v_lshlrev_b64 v[6:7], 3, v[10:11]
	v_mov_b32_e32 v1, v3
	v_add_nc_u32_e32 v18, 0x333, v36
	v_lshlrev_b64 v[10:11], 3, v[12:13]
	v_add_f32_e32 v26, v32, v91
	v_add_f32_e32 v28, v31, v28
	v_mad_u64_u32 v[12:13], null, s3, v35, v[1:2]
	v_mad_u64_u32 v[16:17], null, s2, v18, 0
	v_add_co_u32 v6, vcc_lo, v37, v6
	v_add_f32_e32 v32, v57, v92
	v_add_f32_e32 v31, v88, v89
	v_add_co_ci_u32_e32 v7, vcc_lo, v38, v7, vcc_lo
	v_mov_b32_e32 v15, v0
	v_add_co_u32 v0, vcc_lo, v37, v10
	v_add_f32_e32 v64, v30, v64
	v_add_f32_e32 v65, v29, v65
	;; [unrolled: 1-line block ×4, first 2 shown]
	v_add_co_ci_u32_e32 v1, vcc_lo, v38, v11, vcc_lo
	v_mov_b32_e32 v3, v12
	global_store_dwordx2 v[6:7], v[31:32], off
	v_mov_b32_e32 v6, v17
	v_lshlrev_b64 v[10:11], 3, v[14:15]
	global_store_dwordx2 v[0:1], v[29:30], off
	v_lshlrev_b64 v[0:1], 3, v[2:3]
	v_add_f32_e32 v25, v75, v98
	v_mad_u64_u32 v[2:3], null, s3, v18, v[6:7]
	v_add_co_u32 v6, vcc_lo, v37, v10
	v_add_co_ci_u32_e32 v7, vcc_lo, v38, v11, vcc_lo
	v_add_co_u32 v0, vcc_lo, v37, v0
	v_add_f32_e32 v27, v74, v84
	v_add_co_ci_u32_e32 v1, vcc_lo, v38, v1, vcc_lo
	v_mov_b32_e32 v17, v2
	v_add_nc_u32_e32 v12, 0x3a8, v36
	global_store_dwordx2 v[6:7], v[27:28], off
	global_store_dwordx2 v[0:1], v[25:26], off
	v_add_nc_u32_e32 v14, 0x41d, v36
	v_lshlrev_b64 v[0:1], 3, v[16:17]
	v_add_nc_u32_e32 v16, 0x492, v36
	v_mad_u64_u32 v[2:3], null, s2, v12, 0
	v_mad_u64_u32 v[6:7], null, s2, v14, 0
	;; [unrolled: 1-line block ×3, first 2 shown]
	v_add_nc_u32_e32 v19, 0x507, v36
	v_add_co_u32 v0, vcc_lo, v37, v0
	v_mad_u64_u32 v[12:13], null, s3, v12, v[3:4]
	v_mad_u64_u32 v[13:14], null, s3, v14, v[7:8]
	v_mov_b32_e32 v3, v11
	v_mad_u64_u32 v[14:15], null, s2, v19, 0
	v_add_f32_e32 v21, v64, v59
	v_add_co_ci_u32_e32 v1, vcc_lo, v38, v1, vcc_lo
	v_mad_u64_u32 v[16:17], null, s3, v16, v[3:4]
	v_mov_b32_e32 v3, v12
	v_add_nc_u32_e32 v20, 0x57c, v36
	global_store_dwordx2 v[0:1], v[21:22], off
	v_mov_b32_e32 v0, v15
	v_mov_b32_e32 v7, v13
	v_lshlrev_b64 v[1:2], 3, v[2:3]
	v_mad_u64_u32 v[17:18], null, s2, v20, 0
	v_mov_b32_e32 v11, v16
	v_lshlrev_b64 v[6:7], 3, v[6:7]
	v_add_f32_e32 v42, v42, v105
	v_mad_u64_u32 v[12:13], null, s3, v19, v[0:1]
	v_add_co_u32 v1, vcc_lo, v37, v1
	v_mov_b32_e32 v0, v18
	v_lshlrev_b64 v[10:11], 3, v[10:11]
	v_add_co_ci_u32_e32 v2, vcc_lo, v38, v2, vcc_lo
	v_mov_b32_e32 v15, v12
	v_mad_u64_u32 v[18:19], null, s3, v20, v[0:1]
	v_add_co_u32 v6, vcc_lo, v37, v6
	v_lshlrev_b64 v[12:13], 3, v[14:15]
	v_add_co_ci_u32_e32 v7, vcc_lo, v38, v7, vcc_lo
	v_add_co_u32 v10, vcc_lo, v37, v10
	v_lshlrev_b64 v[14:15], 3, v[17:18]
	v_add_f32_e32 v42, v42, v55
	v_add_co_ci_u32_e32 v11, vcc_lo, v38, v11, vcc_lo
	v_add_co_u32 v12, vcc_lo, v37, v12
	v_add_f32_e32 v23, v65, v60
	v_add_co_ci_u32_e32 v13, vcc_lo, v38, v13, vcc_lo
	v_add_f32_e32 v42, v42, v106
	v_add_f32_e32 v41, v44, v48
	v_add_co_u32 v14, vcc_lo, v37, v14
	v_add_co_ci_u32_e32 v15, vcc_lo, v38, v15, vcc_lo
	global_store_dwordx2 v[1:2], v[23:24], off
	global_store_dwordx2 v[6:7], v[46:47], off
	global_store_dwordx2 v[10:11], v[41:42], off
	global_store_dwordx2 v[12:13], v[8:9], off
	global_store_dwordx2 v[14:15], v[4:5], off
.LBB0_31:
	s_endpgm
	.section	.rodata,"a",@progbits
	.p2align	6, 0x0
	.amdhsa_kernel fft_rtc_back_len1521_factors_13_3_3_13_wgs_117_tpt_117_halfLds_sp_ip_CI_sbrr_dirReg
		.amdhsa_group_segment_fixed_size 0
		.amdhsa_private_segment_fixed_size 0
		.amdhsa_kernarg_size 88
		.amdhsa_user_sgpr_count 6
		.amdhsa_user_sgpr_private_segment_buffer 1
		.amdhsa_user_sgpr_dispatch_ptr 0
		.amdhsa_user_sgpr_queue_ptr 0
		.amdhsa_user_sgpr_kernarg_segment_ptr 1
		.amdhsa_user_sgpr_dispatch_id 0
		.amdhsa_user_sgpr_flat_scratch_init 0
		.amdhsa_user_sgpr_private_segment_size 0
		.amdhsa_wavefront_size32 1
		.amdhsa_uses_dynamic_stack 0
		.amdhsa_system_sgpr_private_segment_wavefront_offset 0
		.amdhsa_system_sgpr_workgroup_id_x 1
		.amdhsa_system_sgpr_workgroup_id_y 0
		.amdhsa_system_sgpr_workgroup_id_z 0
		.amdhsa_system_sgpr_workgroup_info 0
		.amdhsa_system_vgpr_workitem_id 0
		.amdhsa_next_free_vgpr 112
		.amdhsa_next_free_sgpr 23
		.amdhsa_reserve_vcc 1
		.amdhsa_reserve_flat_scratch 0
		.amdhsa_float_round_mode_32 0
		.amdhsa_float_round_mode_16_64 0
		.amdhsa_float_denorm_mode_32 3
		.amdhsa_float_denorm_mode_16_64 3
		.amdhsa_dx10_clamp 1
		.amdhsa_ieee_mode 1
		.amdhsa_fp16_overflow 0
		.amdhsa_workgroup_processor_mode 1
		.amdhsa_memory_ordered 1
		.amdhsa_forward_progress 0
		.amdhsa_shared_vgpr_count 0
		.amdhsa_exception_fp_ieee_invalid_op 0
		.amdhsa_exception_fp_denorm_src 0
		.amdhsa_exception_fp_ieee_div_zero 0
		.amdhsa_exception_fp_ieee_overflow 0
		.amdhsa_exception_fp_ieee_underflow 0
		.amdhsa_exception_fp_ieee_inexact 0
		.amdhsa_exception_int_div_zero 0
	.end_amdhsa_kernel
	.text
.Lfunc_end0:
	.size	fft_rtc_back_len1521_factors_13_3_3_13_wgs_117_tpt_117_halfLds_sp_ip_CI_sbrr_dirReg, .Lfunc_end0-fft_rtc_back_len1521_factors_13_3_3_13_wgs_117_tpt_117_halfLds_sp_ip_CI_sbrr_dirReg
                                        ; -- End function
	.section	.AMDGPU.csdata,"",@progbits
; Kernel info:
; codeLenInByte = 12220
; NumSgprs: 25
; NumVgprs: 112
; ScratchSize: 0
; MemoryBound: 0
; FloatMode: 240
; IeeeMode: 1
; LDSByteSize: 0 bytes/workgroup (compile time only)
; SGPRBlocks: 3
; VGPRBlocks: 13
; NumSGPRsForWavesPerEU: 25
; NumVGPRsForWavesPerEU: 112
; Occupancy: 9
; WaveLimiterHint : 1
; COMPUTE_PGM_RSRC2:SCRATCH_EN: 0
; COMPUTE_PGM_RSRC2:USER_SGPR: 6
; COMPUTE_PGM_RSRC2:TRAP_HANDLER: 0
; COMPUTE_PGM_RSRC2:TGID_X_EN: 1
; COMPUTE_PGM_RSRC2:TGID_Y_EN: 0
; COMPUTE_PGM_RSRC2:TGID_Z_EN: 0
; COMPUTE_PGM_RSRC2:TIDIG_COMP_CNT: 0
	.text
	.p2alignl 6, 3214868480
	.fill 48, 4, 3214868480
	.type	__hip_cuid_79c618fef4be3fdf,@object ; @__hip_cuid_79c618fef4be3fdf
	.section	.bss,"aw",@nobits
	.globl	__hip_cuid_79c618fef4be3fdf
__hip_cuid_79c618fef4be3fdf:
	.byte	0                               ; 0x0
	.size	__hip_cuid_79c618fef4be3fdf, 1

	.ident	"AMD clang version 19.0.0git (https://github.com/RadeonOpenCompute/llvm-project roc-6.4.0 25133 c7fe45cf4b819c5991fe208aaa96edf142730f1d)"
	.section	".note.GNU-stack","",@progbits
	.addrsig
	.addrsig_sym __hip_cuid_79c618fef4be3fdf
	.amdgpu_metadata
---
amdhsa.kernels:
  - .args:
      - .actual_access:  read_only
        .address_space:  global
        .offset:         0
        .size:           8
        .value_kind:     global_buffer
      - .offset:         8
        .size:           8
        .value_kind:     by_value
      - .actual_access:  read_only
        .address_space:  global
        .offset:         16
        .size:           8
        .value_kind:     global_buffer
      - .actual_access:  read_only
        .address_space:  global
        .offset:         24
        .size:           8
        .value_kind:     global_buffer
      - .offset:         32
        .size:           8
        .value_kind:     by_value
      - .actual_access:  read_only
        .address_space:  global
        .offset:         40
        .size:           8
        .value_kind:     global_buffer
      - .actual_access:  read_only
        .address_space:  global
        .offset:         48
        .size:           8
        .value_kind:     global_buffer
      - .offset:         56
        .size:           4
        .value_kind:     by_value
      - .actual_access:  read_only
        .address_space:  global
        .offset:         64
        .size:           8
        .value_kind:     global_buffer
      - .actual_access:  read_only
        .address_space:  global
        .offset:         72
        .size:           8
        .value_kind:     global_buffer
      - .address_space:  global
        .offset:         80
        .size:           8
        .value_kind:     global_buffer
    .group_segment_fixed_size: 0
    .kernarg_segment_align: 8
    .kernarg_segment_size: 88
    .language:       OpenCL C
    .language_version:
      - 2
      - 0
    .max_flat_workgroup_size: 117
    .name:           fft_rtc_back_len1521_factors_13_3_3_13_wgs_117_tpt_117_halfLds_sp_ip_CI_sbrr_dirReg
    .private_segment_fixed_size: 0
    .sgpr_count:     25
    .sgpr_spill_count: 0
    .symbol:         fft_rtc_back_len1521_factors_13_3_3_13_wgs_117_tpt_117_halfLds_sp_ip_CI_sbrr_dirReg.kd
    .uniform_work_group_size: 1
    .uses_dynamic_stack: false
    .vgpr_count:     112
    .vgpr_spill_count: 0
    .wavefront_size: 32
    .workgroup_processor_mode: 1
amdhsa.target:   amdgcn-amd-amdhsa--gfx1030
amdhsa.version:
  - 1
  - 2
...

	.end_amdgpu_metadata
